;; amdgpu-corpus repo=ROCm/rocFFT kind=compiled arch=gfx1030 opt=O3
	.text
	.amdgcn_target "amdgcn-amd-amdhsa--gfx1030"
	.amdhsa_code_object_version 6
	.protected	fft_rtc_fwd_len3000_factors_10_3_10_10_wgs_100_tpt_100_halfLds_dp_ip_CI_unitstride_sbrr_C2R_dirReg ; -- Begin function fft_rtc_fwd_len3000_factors_10_3_10_10_wgs_100_tpt_100_halfLds_dp_ip_CI_unitstride_sbrr_C2R_dirReg
	.globl	fft_rtc_fwd_len3000_factors_10_3_10_10_wgs_100_tpt_100_halfLds_dp_ip_CI_unitstride_sbrr_C2R_dirReg
	.p2align	8
	.type	fft_rtc_fwd_len3000_factors_10_3_10_10_wgs_100_tpt_100_halfLds_dp_ip_CI_unitstride_sbrr_C2R_dirReg,@function
fft_rtc_fwd_len3000_factors_10_3_10_10_wgs_100_tpt_100_halfLds_dp_ip_CI_unitstride_sbrr_C2R_dirReg: ; @fft_rtc_fwd_len3000_factors_10_3_10_10_wgs_100_tpt_100_halfLds_dp_ip_CI_unitstride_sbrr_C2R_dirReg
; %bb.0:
	s_mov_b64 s[26:27], s[2:3]
	s_mov_b64 s[24:25], s[0:1]
	s_clause 0x2
	s_load_dwordx4 s[8:11], s[4:5], 0x0
	s_load_dwordx2 s[2:3], s[4:5], 0x50
	s_load_dwordx2 s[12:13], s[4:5], 0x18
	v_mul_u32_u24_e32 v1, 0x290, v0
	v_mov_b32_e32 v3, 0
	s_add_u32 s24, s24, s7
	s_addc_u32 s25, s25, 0
	v_add_nc_u32_sdwa v5, s6, v1 dst_sel:DWORD dst_unused:UNUSED_PAD src0_sel:DWORD src1_sel:WORD_1
	v_mov_b32_e32 v1, 0
	v_mov_b32_e32 v6, v3
	;; [unrolled: 1-line block ×3, first 2 shown]
	s_waitcnt lgkmcnt(0)
	v_cmp_lt_u64_e64 s0, s[10:11], 2
	s_and_b32 vcc_lo, exec_lo, s0
	s_cbranch_vccnz .LBB0_8
; %bb.1:
	s_load_dwordx2 s[0:1], s[4:5], 0x10
	v_mov_b32_e32 v1, 0
	s_add_u32 s6, s12, 8
	v_mov_b32_e32 v2, 0
	s_addc_u32 s7, s13, 0
	s_mov_b64 s[16:17], 1
	s_waitcnt lgkmcnt(0)
	s_add_u32 s14, s0, 8
	s_addc_u32 s15, s1, 0
.LBB0_2:                                ; =>This Inner Loop Header: Depth=1
	s_load_dwordx2 s[18:19], s[14:15], 0x0
                                        ; implicit-def: $vgpr7_vgpr8
	s_mov_b32 s0, exec_lo
	s_waitcnt lgkmcnt(0)
	v_or_b32_e32 v4, s19, v6
	v_cmpx_ne_u64_e32 0, v[3:4]
	s_xor_b32 s1, exec_lo, s0
	s_cbranch_execz .LBB0_4
; %bb.3:                                ;   in Loop: Header=BB0_2 Depth=1
	v_cvt_f32_u32_e32 v4, s18
	v_cvt_f32_u32_e32 v7, s19
	s_sub_u32 s0, 0, s18
	s_subb_u32 s20, 0, s19
	v_fmac_f32_e32 v4, 0x4f800000, v7
	v_rcp_f32_e32 v4, v4
	v_mul_f32_e32 v4, 0x5f7ffffc, v4
	v_mul_f32_e32 v7, 0x2f800000, v4
	v_trunc_f32_e32 v7, v7
	v_fmac_f32_e32 v4, 0xcf800000, v7
	v_cvt_u32_f32_e32 v7, v7
	v_cvt_u32_f32_e32 v4, v4
	v_mul_lo_u32 v8, s0, v7
	v_mul_hi_u32 v9, s0, v4
	v_mul_lo_u32 v10, s20, v4
	v_add_nc_u32_e32 v8, v9, v8
	v_mul_lo_u32 v9, s0, v4
	v_add_nc_u32_e32 v8, v8, v10
	v_mul_hi_u32 v10, v4, v9
	v_mul_lo_u32 v11, v4, v8
	v_mul_hi_u32 v12, v4, v8
	v_mul_hi_u32 v13, v7, v9
	v_mul_lo_u32 v9, v7, v9
	v_mul_hi_u32 v14, v7, v8
	v_mul_lo_u32 v8, v7, v8
	v_add_co_u32 v10, vcc_lo, v10, v11
	v_add_co_ci_u32_e32 v11, vcc_lo, 0, v12, vcc_lo
	v_add_co_u32 v9, vcc_lo, v10, v9
	v_add_co_ci_u32_e32 v9, vcc_lo, v11, v13, vcc_lo
	v_add_co_ci_u32_e32 v10, vcc_lo, 0, v14, vcc_lo
	v_add_co_u32 v8, vcc_lo, v9, v8
	v_add_co_ci_u32_e32 v9, vcc_lo, 0, v10, vcc_lo
	v_add_co_u32 v4, vcc_lo, v4, v8
	v_add_co_ci_u32_e32 v7, vcc_lo, v7, v9, vcc_lo
	v_mul_hi_u32 v8, s0, v4
	v_mul_lo_u32 v10, s20, v4
	v_mul_lo_u32 v9, s0, v7
	v_add_nc_u32_e32 v8, v8, v9
	v_mul_lo_u32 v9, s0, v4
	v_add_nc_u32_e32 v8, v8, v10
	v_mul_hi_u32 v10, v4, v9
	v_mul_lo_u32 v11, v4, v8
	v_mul_hi_u32 v12, v4, v8
	v_mul_hi_u32 v13, v7, v9
	v_mul_lo_u32 v9, v7, v9
	v_mul_hi_u32 v14, v7, v8
	v_mul_lo_u32 v8, v7, v8
	v_add_co_u32 v10, vcc_lo, v10, v11
	v_add_co_ci_u32_e32 v11, vcc_lo, 0, v12, vcc_lo
	v_add_co_u32 v9, vcc_lo, v10, v9
	v_add_co_ci_u32_e32 v9, vcc_lo, v11, v13, vcc_lo
	v_add_co_ci_u32_e32 v10, vcc_lo, 0, v14, vcc_lo
	v_add_co_u32 v8, vcc_lo, v9, v8
	v_add_co_ci_u32_e32 v9, vcc_lo, 0, v10, vcc_lo
	v_add_co_u32 v4, vcc_lo, v4, v8
	v_add_co_ci_u32_e32 v11, vcc_lo, v7, v9, vcc_lo
	v_mul_hi_u32 v13, v5, v4
	v_mad_u64_u32 v[9:10], null, v6, v4, 0
	v_mad_u64_u32 v[7:8], null, v5, v11, 0
	;; [unrolled: 1-line block ×3, first 2 shown]
	v_add_co_u32 v4, vcc_lo, v13, v7
	v_add_co_ci_u32_e32 v7, vcc_lo, 0, v8, vcc_lo
	v_add_co_u32 v4, vcc_lo, v4, v9
	v_add_co_ci_u32_e32 v4, vcc_lo, v7, v10, vcc_lo
	v_add_co_ci_u32_e32 v7, vcc_lo, 0, v12, vcc_lo
	v_add_co_u32 v4, vcc_lo, v4, v11
	v_add_co_ci_u32_e32 v9, vcc_lo, 0, v7, vcc_lo
	v_mul_lo_u32 v10, s19, v4
	v_mad_u64_u32 v[7:8], null, s18, v4, 0
	v_mul_lo_u32 v11, s18, v9
	v_sub_co_u32 v7, vcc_lo, v5, v7
	v_add3_u32 v8, v8, v11, v10
	v_sub_nc_u32_e32 v10, v6, v8
	v_subrev_co_ci_u32_e64 v10, s0, s19, v10, vcc_lo
	v_add_co_u32 v11, s0, v4, 2
	v_add_co_ci_u32_e64 v12, s0, 0, v9, s0
	v_sub_co_u32 v13, s0, v7, s18
	v_sub_co_ci_u32_e32 v8, vcc_lo, v6, v8, vcc_lo
	v_subrev_co_ci_u32_e64 v10, s0, 0, v10, s0
	v_cmp_le_u32_e32 vcc_lo, s18, v13
	v_cmp_eq_u32_e64 s0, s19, v8
	v_cndmask_b32_e64 v13, 0, -1, vcc_lo
	v_cmp_le_u32_e32 vcc_lo, s19, v10
	v_cndmask_b32_e64 v14, 0, -1, vcc_lo
	v_cmp_le_u32_e32 vcc_lo, s18, v7
	;; [unrolled: 2-line block ×3, first 2 shown]
	v_cndmask_b32_e64 v15, 0, -1, vcc_lo
	v_cmp_eq_u32_e32 vcc_lo, s19, v10
	v_cndmask_b32_e64 v7, v15, v7, s0
	v_cndmask_b32_e32 v10, v14, v13, vcc_lo
	v_add_co_u32 v13, vcc_lo, v4, 1
	v_add_co_ci_u32_e32 v14, vcc_lo, 0, v9, vcc_lo
	v_cmp_ne_u32_e32 vcc_lo, 0, v10
	v_cndmask_b32_e32 v8, v14, v12, vcc_lo
	v_cndmask_b32_e32 v10, v13, v11, vcc_lo
	v_cmp_ne_u32_e32 vcc_lo, 0, v7
	v_cndmask_b32_e32 v8, v9, v8, vcc_lo
	v_cndmask_b32_e32 v7, v4, v10, vcc_lo
.LBB0_4:                                ;   in Loop: Header=BB0_2 Depth=1
	s_andn2_saveexec_b32 s0, s1
	s_cbranch_execz .LBB0_6
; %bb.5:                                ;   in Loop: Header=BB0_2 Depth=1
	v_cvt_f32_u32_e32 v4, s18
	s_sub_i32 s1, 0, s18
	v_rcp_iflag_f32_e32 v4, v4
	v_mul_f32_e32 v4, 0x4f7ffffe, v4
	v_cvt_u32_f32_e32 v4, v4
	v_mul_lo_u32 v7, s1, v4
	v_mul_hi_u32 v7, v4, v7
	v_add_nc_u32_e32 v4, v4, v7
	v_mul_hi_u32 v4, v5, v4
	v_mul_lo_u32 v7, v4, s18
	v_add_nc_u32_e32 v8, 1, v4
	v_sub_nc_u32_e32 v7, v5, v7
	v_subrev_nc_u32_e32 v9, s18, v7
	v_cmp_le_u32_e32 vcc_lo, s18, v7
	v_cndmask_b32_e32 v7, v7, v9, vcc_lo
	v_cndmask_b32_e32 v4, v4, v8, vcc_lo
	v_cmp_le_u32_e32 vcc_lo, s18, v7
	v_add_nc_u32_e32 v8, 1, v4
	v_cndmask_b32_e32 v7, v4, v8, vcc_lo
	v_mov_b32_e32 v8, v3
.LBB0_6:                                ;   in Loop: Header=BB0_2 Depth=1
	s_or_b32 exec_lo, exec_lo, s0
	s_load_dwordx2 s[0:1], s[6:7], 0x0
	v_mul_lo_u32 v4, v8, s18
	v_mul_lo_u32 v11, v7, s19
	v_mad_u64_u32 v[9:10], null, v7, s18, 0
	s_add_u32 s16, s16, 1
	s_addc_u32 s17, s17, 0
	s_add_u32 s6, s6, 8
	s_addc_u32 s7, s7, 0
	;; [unrolled: 2-line block ×3, first 2 shown]
	v_add3_u32 v4, v10, v11, v4
	v_sub_co_u32 v5, vcc_lo, v5, v9
	v_sub_co_ci_u32_e32 v4, vcc_lo, v6, v4, vcc_lo
	s_waitcnt lgkmcnt(0)
	v_mul_lo_u32 v6, s1, v5
	v_mul_lo_u32 v4, s0, v4
	v_mad_u64_u32 v[1:2], null, s0, v5, v[1:2]
	v_cmp_ge_u64_e64 s0, s[16:17], s[10:11]
	s_and_b32 vcc_lo, exec_lo, s0
	v_add3_u32 v2, v6, v2, v4
	s_cbranch_vccnz .LBB0_9
; %bb.7:                                ;   in Loop: Header=BB0_2 Depth=1
	v_mov_b32_e32 v5, v7
	v_mov_b32_e32 v6, v8
	s_branch .LBB0_2
.LBB0_8:
	v_mov_b32_e32 v8, v6
	v_mov_b32_e32 v7, v5
.LBB0_9:
	s_lshl_b64 s[0:1], s[10:11], 3
	v_mul_hi_u32 v5, 0x28f5c29, v0
	s_add_u32 s0, s12, s0
	s_addc_u32 s1, s13, s1
	s_load_dwordx2 s[0:1], s[0:1], 0x0
	s_load_dwordx2 s[4:5], s[4:5], 0x20
	s_waitcnt lgkmcnt(0)
	v_mul_lo_u32 v3, s0, v8
	v_mul_lo_u32 v4, s1, v7
	v_mad_u64_u32 v[1:2], null, s0, v7, v[1:2]
	v_cmp_gt_u64_e32 vcc_lo, s[4:5], v[7:8]
	v_add3_u32 v2, v4, v2, v3
	v_mul_u32_u24_e32 v3, 0x64, v5
	v_lshlrev_b64 v[1:2], 4, v[1:2]
	v_sub_nc_u32_e32 v228, v0, v3
	buffer_store_dword v1, off, s[24:27], 0 ; 4-byte Folded Spill
	buffer_store_dword v2, off, s[24:27], 0 offset:4 ; 4-byte Folded Spill
	s_and_saveexec_b32 s1, vcc_lo
	s_cbranch_execz .LBB0_13
; %bb.10:
	s_clause 0x1
	buffer_load_dword v0, off, s[24:27], 0
	buffer_load_dword v1, off, s[24:27], 0 offset:4
	v_mov_b32_e32 v229, 0
	v_lshl_add_u32 v122, v228, 4, 0
	v_lshlrev_b64 v[2:3], 4, v[228:229]
	s_waitcnt vmcnt(1)
	v_add_co_u32 v0, s0, s2, v0
	s_waitcnt vmcnt(0)
	v_add_co_ci_u32_e64 v1, s0, s3, v1, s0
	v_add_co_u32 v66, s0, v0, v2
	v_add_co_ci_u32_e64 v67, s0, v1, v3, s0
	s_clause 0x1
	global_load_dwordx4 v[2:5], v[66:67], off
	global_load_dwordx4 v[6:9], v[66:67], off offset:1600
	v_add_co_u32 v10, s0, 0x800, v66
	v_add_co_ci_u32_e64 v11, s0, 0, v67, s0
	v_add_co_u32 v14, s0, 0x1000, v66
	v_add_co_ci_u32_e64 v15, s0, 0, v67, s0
	v_add_co_u32 v22, s0, 0x1800, v66
	v_add_co_ci_u32_e64 v23, s0, 0, v67, s0
	v_add_co_u32 v26, s0, 0x2000, v66
	v_add_co_ci_u32_e64 v27, s0, 0, v67, s0
	v_add_co_u32 v30, s0, 0x2800, v66
	v_add_co_ci_u32_e64 v31, s0, 0, v67, s0
	v_add_co_u32 v34, s0, 0x3000, v66
	v_add_co_ci_u32_e64 v35, s0, 0, v67, s0
	v_add_co_u32 v42, s0, 0x3800, v66
	v_add_co_ci_u32_e64 v43, s0, 0, v67, s0
	v_add_co_u32 v46, s0, 0x4000, v66
	v_add_co_ci_u32_e64 v47, s0, 0, v67, s0
	v_add_co_u32 v50, s0, 0x4800, v66
	v_add_co_ci_u32_e64 v51, s0, 0, v67, s0
	v_add_co_u32 v58, s0, 0x5000, v66
	v_add_co_ci_u32_e64 v59, s0, 0, v67, s0
	v_add_co_u32 v62, s0, 0x5800, v66
	v_add_co_ci_u32_e64 v63, s0, 0, v67, s0
	v_add_co_u32 v68, s0, 0x6000, v66
	v_add_co_ci_u32_e64 v69, s0, 0, v67, s0
	v_add_co_u32 v70, s0, 0x6800, v66
	v_add_co_ci_u32_e64 v71, s0, 0, v67, s0
	v_add_co_u32 v78, s0, 0x7000, v66
	v_add_co_ci_u32_e64 v79, s0, 0, v67, s0
	v_add_co_u32 v82, s0, 0x7800, v66
	v_add_co_ci_u32_e64 v83, s0, 0, v67, s0
	v_add_co_u32 v86, s0, 0x8000, v66
	v_add_co_ci_u32_e64 v87, s0, 0, v67, s0
	v_add_co_u32 v94, s0, 0x8800, v66
	v_add_co_ci_u32_e64 v95, s0, 0, v67, s0
	v_add_co_u32 v98, s0, 0x9000, v66
	v_add_co_ci_u32_e64 v99, s0, 0, v67, s0
	v_add_co_u32 v102, s0, 0x9800, v66
	v_add_co_ci_u32_e64 v103, s0, 0, v67, s0
	v_add_co_u32 v106, s0, 0xa000, v66
	v_add_co_ci_u32_e64 v107, s0, 0, v67, s0
	v_add_co_u32 v114, s0, 0xa800, v66
	v_add_co_ci_u32_e64 v115, s0, 0, v67, s0
	v_add_co_u32 v118, s0, 0xb000, v66
	v_add_co_ci_u32_e64 v119, s0, 0, v67, s0
	s_clause 0x1b
	global_load_dwordx4 v[10:13], v[10:11], off offset:1152
	global_load_dwordx4 v[14:17], v[14:15], off offset:704
	;; [unrolled: 1-line block ×28, first 2 shown]
	v_cmp_eq_u32_e64 s0, 0x63, v228
	s_waitcnt vmcnt(29)
	ds_write_b128 v122, v[2:5]
	s_waitcnt vmcnt(28)
	ds_write_b128 v122, v[6:9] offset:1600
	s_waitcnt vmcnt(27)
	ds_write_b128 v122, v[10:13] offset:3200
	;; [unrolled: 2-line block ×29, first 2 shown]
	s_and_saveexec_b32 s4, s0
	s_cbranch_execz .LBB0_12
; %bb.11:
	v_add_co_u32 v0, s0, 0xb800, v0
	v_add_co_ci_u32_e64 v1, s0, 0, v1, s0
	v_mov_b32_e32 v228, 0x63
	global_load_dwordx4 v[0:3], v[0:1], off offset:896
	s_waitcnt vmcnt(0)
	ds_write_b128 v229, v[0:3] offset:48000
.LBB0_12:
	s_or_b32 exec_lo, exec_lo, s4
.LBB0_13:
	s_or_b32 exec_lo, exec_lo, s1
	v_lshlrev_b32_e32 v0, 4, v228
	s_waitcnt lgkmcnt(0)
	s_waitcnt_vscnt null, 0x0
	s_barrier
	buffer_gl0_inv
	s_add_u32 s1, s8, 0xbae0
	v_add_nc_u32_e32 v238, 0, v0
	v_sub_nc_u32_e32 v16, 0, v0
	s_addc_u32 s4, s9, 0
	s_mov_b32 s5, exec_lo
                                        ; implicit-def: $vgpr4_vgpr5
	ds_read_b64 v[6:7], v238
	ds_read_b64 v[8:9], v16 offset:48000
	s_waitcnt lgkmcnt(0)
	v_add_f64 v[0:1], v[6:7], v[8:9]
	v_add_f64 v[2:3], v[6:7], -v[8:9]
	v_cmpx_ne_u32_e32 0, v228
	s_xor_b32 s5, exec_lo, s5
	s_cbranch_execz .LBB0_15
; %bb.14:
	v_mov_b32_e32 v229, 0
	v_add_f64 v[12:13], v[6:7], v[8:9]
	v_add_f64 v[14:15], v[6:7], -v[8:9]
	v_lshlrev_b64 v[0:1], 4, v[228:229]
	v_add_co_u32 v0, s0, s1, v0
	v_add_co_ci_u32_e64 v1, s0, s4, v1, s0
	global_load_dwordx4 v[2:5], v[0:1], off
	ds_read_b64 v[0:1], v16 offset:48008
	ds_read_b64 v[10:11], v238 offset:8
	s_waitcnt lgkmcnt(0)
	v_add_f64 v[6:7], v[0:1], v[10:11]
	v_add_f64 v[0:1], v[10:11], -v[0:1]
	s_waitcnt vmcnt(0)
	v_fma_f64 v[8:9], v[14:15], v[4:5], v[12:13]
	v_fma_f64 v[10:11], -v[14:15], v[4:5], v[12:13]
	v_fma_f64 v[12:13], v[6:7], v[4:5], -v[0:1]
	v_fma_f64 v[4:5], v[6:7], v[4:5], v[0:1]
	v_fma_f64 v[0:1], -v[6:7], v[2:3], v[8:9]
	v_fma_f64 v[6:7], v[6:7], v[2:3], v[10:11]
	v_fma_f64 v[8:9], v[14:15], v[2:3], v[12:13]
	;; [unrolled: 1-line block ×3, first 2 shown]
	v_mov_b32_e32 v4, v228
	v_mov_b32_e32 v5, v229
	ds_write_b128 v16, v[6:9] offset:48000
.LBB0_15:
	s_andn2_saveexec_b32 s0, s5
	s_cbranch_execz .LBB0_17
; %bb.16:
	v_mov_b32_e32 v12, 0
	ds_read_b128 v[4:7], v12 offset:24000
	s_waitcnt lgkmcnt(0)
	v_add_f64 v[8:9], v[4:5], v[4:5]
	v_mul_f64 v[10:11], v[6:7], -2.0
	v_mov_b32_e32 v4, 0
	v_mov_b32_e32 v5, 0
	ds_write_b128 v12, v[8:11] offset:24000
.LBB0_17:
	s_or_b32 exec_lo, exec_lo, s0
	v_lshlrev_b64 v[4:5], 4, v[4:5]
	ds_write_b128 v238, v[0:3]
	s_mov_b32 s13, 0xbfee6f0e
	s_mov_b32 s6, 0x4755a5e
	;; [unrolled: 1-line block ×4, first 2 shown]
	v_add_co_u32 v4, s0, s1, v4
	v_add_co_ci_u32_e64 v5, s0, s4, v5, s0
	s_mov_b32 s4, 0x134454ff
	v_add_co_u32 v10, s0, 0x800, v4
	global_load_dwordx4 v[6:9], v[4:5], off offset:1600
	v_add_co_ci_u32_e64 v11, s0, 0, v5, s0
	v_add_co_u32 v14, s0, 0x1000, v4
	v_add_co_ci_u32_e64 v15, s0, 0, v5, s0
	global_load_dwordx4 v[10:13], v[10:11], off offset:1152
	s_mov_b32 s5, 0x3fee6f0e
	s_mov_b32 s12, s4
	global_load_dwordx4 v[17:20], v[14:15], off offset:704
	v_add_co_u32 v14, s0, 0x1800, v4
	v_add_co_ci_u32_e64 v15, s0, 0, v5, s0
	ds_read_b128 v[0:3], v238 offset:1600
	ds_read_b128 v[21:24], v16 offset:46400
	s_mov_b32 s10, s6
	v_add_nc_u32_e32 v39, 0x12c, v228
	global_load_dwordx4 v[25:28], v[14:15], off offset:256
	s_mov_b32 s14, 0x372fe950
	s_mov_b32 s15, 0x3fd3c6ef
	;; [unrolled: 1-line block ×4, first 2 shown]
	v_add_nc_u16 v227, v228, 0x64
	v_add_nc_u32_e32 v255, 0xc8, v228
	v_add_nc_u32_e32 v41, 0x384, v228
	v_mov_b32_e32 v40, 5
	s_mov_b32 s19, 0xbfebb67a
	s_waitcnt lgkmcnt(0)
	v_add_f64 v[29:30], v[0:1], v[21:22]
	v_add_f64 v[31:32], v[23:24], v[2:3]
	v_add_f64 v[33:34], v[0:1], -v[21:22]
	v_add_f64 v[0:1], v[2:3], -v[23:24]
	s_waitcnt vmcnt(3)
	v_fma_f64 v[2:3], v[33:34], v[8:9], v[29:30]
	v_fma_f64 v[21:22], v[31:32], v[8:9], v[0:1]
	v_fma_f64 v[23:24], -v[33:34], v[8:9], v[29:30]
	v_fma_f64 v[8:9], v[31:32], v[8:9], -v[0:1]
	v_fma_f64 v[0:1], -v[31:32], v[6:7], v[2:3]
	v_fma_f64 v[2:3], v[33:34], v[6:7], v[21:22]
	v_fma_f64 v[21:22], v[31:32], v[6:7], v[23:24]
	;; [unrolled: 1-line block ×3, first 2 shown]
	ds_write_b128 v238, v[0:3] offset:1600
	ds_write_b128 v16, v[21:24] offset:46400
	ds_read_b128 v[0:3], v238 offset:3200
	ds_read_b128 v[6:9], v16 offset:44800
	global_load_dwordx4 v[21:24], v[14:15], off offset:1856
	s_waitcnt lgkmcnt(0)
	v_add_f64 v[14:15], v[0:1], v[6:7]
	v_add_f64 v[29:30], v[8:9], v[2:3]
	v_add_f64 v[31:32], v[0:1], -v[6:7]
	v_add_f64 v[0:1], v[2:3], -v[8:9]
	s_waitcnt vmcnt(3)
	v_fma_f64 v[2:3], v[31:32], v[12:13], v[14:15]
	v_fma_f64 v[6:7], v[29:30], v[12:13], v[0:1]
	v_fma_f64 v[8:9], -v[31:32], v[12:13], v[14:15]
	v_fma_f64 v[12:13], v[29:30], v[12:13], -v[0:1]
	v_fma_f64 v[0:1], -v[29:30], v[10:11], v[2:3]
	v_fma_f64 v[2:3], v[31:32], v[10:11], v[6:7]
	v_fma_f64 v[6:7], v[29:30], v[10:11], v[8:9]
	v_fma_f64 v[8:9], v[31:32], v[10:11], v[12:13]
	v_add_co_u32 v10, s0, 0x2000, v4
	v_add_co_ci_u32_e64 v11, s0, 0, v5, s0
	ds_write_b128 v238, v[0:3] offset:3200
	ds_write_b128 v16, v[6:9] offset:44800
	ds_read_b128 v[0:3], v238 offset:4800
	ds_read_b128 v[6:9], v16 offset:43200
	global_load_dwordx4 v[10:13], v[10:11], off offset:1408
	s_waitcnt lgkmcnt(0)
	v_add_f64 v[14:15], v[0:1], v[6:7]
	v_add_f64 v[29:30], v[8:9], v[2:3]
	v_add_f64 v[31:32], v[0:1], -v[6:7]
	v_add_f64 v[0:1], v[2:3], -v[8:9]
	s_waitcnt vmcnt(3)
	v_fma_f64 v[2:3], v[31:32], v[19:20], v[14:15]
	v_fma_f64 v[6:7], v[29:30], v[19:20], v[0:1]
	v_fma_f64 v[8:9], -v[31:32], v[19:20], v[14:15]
	v_fma_f64 v[14:15], v[29:30], v[19:20], -v[0:1]
	v_fma_f64 v[0:1], -v[29:30], v[17:18], v[2:3]
	v_fma_f64 v[2:3], v[31:32], v[17:18], v[6:7]
	v_fma_f64 v[6:7], v[29:30], v[17:18], v[8:9]
	v_fma_f64 v[8:9], v[31:32], v[17:18], v[14:15]
	v_add_co_u32 v14, s0, 0x2800, v4
	v_add_co_ci_u32_e64 v15, s0, 0, v5, s0
	;; [unrolled: 21-line block ×4, first 2 shown]
	ds_write_b128 v238, v[0:3] offset:8000
	ds_write_b128 v16, v[6:9] offset:40000
	ds_read_b128 v[0:3], v238 offset:9600
	ds_read_b128 v[6:9], v16 offset:38400
	global_load_dwordx4 v[21:24], v[14:15], off offset:64
	s_waitcnt lgkmcnt(0)
	v_add_f64 v[29:30], v[0:1], v[6:7]
	v_add_f64 v[31:32], v[8:9], v[2:3]
	v_add_f64 v[33:34], v[0:1], -v[6:7]
	v_add_f64 v[0:1], v[2:3], -v[8:9]
	s_waitcnt vmcnt(3)
	v_fma_f64 v[2:3], v[33:34], v[12:13], v[29:30]
	v_fma_f64 v[6:7], v[31:32], v[12:13], v[0:1]
	v_fma_f64 v[8:9], -v[33:34], v[12:13], v[29:30]
	v_fma_f64 v[12:13], v[31:32], v[12:13], -v[0:1]
	v_fma_f64 v[0:1], -v[31:32], v[10:11], v[2:3]
	v_fma_f64 v[2:3], v[33:34], v[10:11], v[6:7]
	v_fma_f64 v[6:7], v[31:32], v[10:11], v[8:9]
	;; [unrolled: 1-line block ×3, first 2 shown]
	ds_write_b128 v238, v[0:3] offset:9600
	ds_write_b128 v16, v[6:9] offset:38400
	ds_read_b128 v[0:3], v238 offset:11200
	ds_read_b128 v[6:9], v16 offset:36800
	global_load_dwordx4 v[10:13], v[14:15], off offset:1664
	s_waitcnt lgkmcnt(0)
	v_add_f64 v[14:15], v[0:1], v[6:7]
	v_add_f64 v[29:30], v[8:9], v[2:3]
	v_add_f64 v[31:32], v[0:1], -v[6:7]
	v_add_f64 v[0:1], v[2:3], -v[8:9]
	s_waitcnt vmcnt(3)
	v_fma_f64 v[2:3], v[31:32], v[19:20], v[14:15]
	v_fma_f64 v[6:7], v[29:30], v[19:20], v[0:1]
	v_fma_f64 v[8:9], -v[31:32], v[19:20], v[14:15]
	v_fma_f64 v[14:15], v[29:30], v[19:20], -v[0:1]
	v_fma_f64 v[0:1], -v[29:30], v[17:18], v[2:3]
	v_fma_f64 v[2:3], v[31:32], v[17:18], v[6:7]
	v_fma_f64 v[6:7], v[29:30], v[17:18], v[8:9]
	v_fma_f64 v[8:9], v[31:32], v[17:18], v[14:15]
	v_add_co_u32 v14, s0, 0x4000, v4
	v_add_co_ci_u32_e64 v15, s0, 0, v5, s0
	ds_write_b128 v238, v[0:3] offset:11200
	ds_write_b128 v16, v[6:9] offset:36800
	ds_read_b128 v[0:3], v238 offset:12800
	ds_read_b128 v[6:9], v16 offset:35200
	global_load_dwordx4 v[17:20], v[14:15], off offset:1216
	s_waitcnt lgkmcnt(0)
	v_add_f64 v[14:15], v[0:1], v[6:7]
	v_add_f64 v[29:30], v[8:9], v[2:3]
	v_add_f64 v[31:32], v[0:1], -v[6:7]
	v_add_f64 v[0:1], v[2:3], -v[8:9]
	s_waitcnt vmcnt(3)
	v_fma_f64 v[2:3], v[31:32], v[27:28], v[14:15]
	v_fma_f64 v[6:7], v[29:30], v[27:28], v[0:1]
	v_fma_f64 v[8:9], -v[31:32], v[27:28], v[14:15]
	v_fma_f64 v[14:15], v[29:30], v[27:28], -v[0:1]
	v_fma_f64 v[0:1], -v[29:30], v[25:26], v[2:3]
	v_fma_f64 v[2:3], v[31:32], v[25:26], v[6:7]
	v_fma_f64 v[6:7], v[29:30], v[25:26], v[8:9]
	v_fma_f64 v[8:9], v[31:32], v[25:26], v[14:15]
	v_add_co_u32 v14, s0, 0x4800, v4
	v_add_co_ci_u32_e64 v15, s0, 0, v5, s0
	;; [unrolled: 21-line block ×3, first 2 shown]
	s_mov_b32 s0, 0xe8584caa
	s_mov_b32 s1, 0x3febb67a
	;; [unrolled: 1-line block ×3, first 2 shown]
	ds_write_b128 v238, v[0:3] offset:14400
	ds_write_b128 v16, v[6:9] offset:33600
	ds_read_b128 v[0:3], v238 offset:16000
	ds_read_b128 v[4:7], v16 offset:32000
	global_load_dwordx4 v[21:24], v[14:15], off offset:320
	s_waitcnt lgkmcnt(0)
	v_add_f64 v[8:9], v[0:1], v[4:5]
	v_add_f64 v[29:30], v[6:7], v[2:3]
	v_add_f64 v[31:32], v[0:1], -v[4:5]
	v_add_f64 v[0:1], v[2:3], -v[6:7]
	s_waitcnt vmcnt(3)
	v_fma_f64 v[2:3], v[31:32], v[12:13], v[8:9]
	v_fma_f64 v[4:5], v[29:30], v[12:13], v[0:1]
	v_fma_f64 v[6:7], -v[31:32], v[12:13], v[8:9]
	v_fma_f64 v[8:9], v[29:30], v[12:13], -v[0:1]
	v_fma_f64 v[0:1], -v[29:30], v[10:11], v[2:3]
	v_fma_f64 v[2:3], v[31:32], v[10:11], v[4:5]
	v_fma_f64 v[4:5], v[29:30], v[10:11], v[6:7]
	;; [unrolled: 1-line block ×3, first 2 shown]
	v_and_b32_e32 v31, 0xff, v228
	v_add_nc_u32_e32 v32, 0x320, v228
	ds_write_b128 v238, v[0:3] offset:16000
	ds_write_b128 v16, v[4:7] offset:32000
	ds_read_b128 v[4:7], v238 offset:17600
	ds_read_b128 v[8:11], v16 offset:30400
	global_load_dwordx4 v[0:3], v[14:15], off offset:1920
	s_waitcnt lgkmcnt(0)
	v_add_f64 v[12:13], v[4:5], v[8:9]
	v_add_f64 v[14:15], v[10:11], v[6:7]
	v_add_f64 v[29:30], v[4:5], -v[8:9]
	v_add_f64 v[4:5], v[6:7], -v[10:11]
	s_waitcnt vmcnt(3)
	v_fma_f64 v[6:7], v[29:30], v[19:20], v[12:13]
	v_fma_f64 v[8:9], v[14:15], v[19:20], v[4:5]
	v_fma_f64 v[10:11], -v[29:30], v[19:20], v[12:13]
	v_fma_f64 v[12:13], v[14:15], v[19:20], -v[4:5]
	v_add_nc_u32_e32 v20, 0x2bc, v228
	v_fma_f64 v[4:5], -v[14:15], v[17:18], v[6:7]
	v_fma_f64 v[6:7], v[29:30], v[17:18], v[8:9]
	v_fma_f64 v[8:9], v[14:15], v[17:18], v[10:11]
	v_fma_f64 v[10:11], v[29:30], v[17:18], v[12:13]
	ds_write_b128 v238, v[4:7] offset:17600
	ds_write_b128 v16, v[8:11] offset:30400
	ds_read_b128 v[4:7], v238 offset:19200
	ds_read_b128 v[8:11], v16 offset:28800
	s_waitcnt lgkmcnt(0)
	v_add_f64 v[12:13], v[4:5], v[8:9]
	v_add_f64 v[14:15], v[10:11], v[6:7]
	v_add_f64 v[17:18], v[4:5], -v[8:9]
	v_add_f64 v[4:5], v[6:7], -v[10:11]
	s_waitcnt vmcnt(2)
	v_fma_f64 v[6:7], v[17:18], v[27:28], v[12:13]
	v_fma_f64 v[8:9], v[14:15], v[27:28], v[4:5]
	v_fma_f64 v[10:11], -v[17:18], v[27:28], v[12:13]
	v_fma_f64 v[12:13], v[14:15], v[27:28], -v[4:5]
	v_fma_f64 v[4:5], -v[14:15], v[25:26], v[6:7]
	v_fma_f64 v[6:7], v[17:18], v[25:26], v[8:9]
	v_fma_f64 v[8:9], v[14:15], v[25:26], v[10:11]
	v_fma_f64 v[10:11], v[17:18], v[25:26], v[12:13]
	ds_write_b128 v238, v[4:7] offset:19200
	ds_write_b128 v16, v[8:11] offset:28800
	ds_read_b128 v[4:7], v238 offset:20800
	ds_read_b128 v[8:11], v16 offset:27200
	s_waitcnt lgkmcnt(0)
	v_add_f64 v[12:13], v[4:5], v[8:9]
	v_add_f64 v[14:15], v[10:11], v[6:7]
	v_add_f64 v[17:18], v[4:5], -v[8:9]
	v_add_f64 v[4:5], v[6:7], -v[10:11]
	s_waitcnt vmcnt(1)
	v_fma_f64 v[6:7], v[17:18], v[23:24], v[12:13]
	v_fma_f64 v[8:9], v[14:15], v[23:24], v[4:5]
	v_fma_f64 v[10:11], -v[17:18], v[23:24], v[12:13]
	v_fma_f64 v[12:13], v[14:15], v[23:24], -v[4:5]
	;; [unrolled: 18-line block ×3, first 2 shown]
	v_fma_f64 v[2:3], -v[6:7], v[0:1], v[4:5]
	v_fma_f64 v[4:5], v[8:9], v[0:1], v[10:11]
	v_fma_f64 v[6:7], v[6:7], v[0:1], v[12:13]
	;; [unrolled: 1-line block ×3, first 2 shown]
	v_mov_b32_e32 v12, 0xcccd
	v_add_nc_u32_e32 v10, 0x190, v228
	v_add_nc_u32_e32 v11, 0x1f4, v228
	;; [unrolled: 1-line block ×3, first 2 shown]
	ds_write_b128 v238, v[2:5] offset:22400
	ds_write_b128 v16, v[6:9] offset:25600
	s_waitcnt lgkmcnt(0)
	s_barrier
	buffer_gl0_inv
	s_barrier
	buffer_gl0_inv
	ds_read_b128 v[2:5], v238 offset:19200
	ds_read_b128 v[6:9], v238 offset:28800
	;; [unrolled: 1-line block ×4, first 2 shown]
	ds_read_b128 v[25:28], v238
	ds_read_b128 v[33:36], v238 offset:4800
	ds_read_b128 v[42:45], v238 offset:6400
	;; [unrolled: 1-line block ×25, first 2 shown]
	s_waitcnt lgkmcnt(26)
	v_add_f64 v[78:79], v[23:24], v[16:17]
	s_waitcnt lgkmcnt(25)
	v_add_f64 v[145:146], v[27:28], v[23:24]
	v_add_f64 v[147:148], v[23:24], -v[16:17]
	v_add_f64 v[153:154], v[23:24], -v[4:5]
	;; [unrolled: 1-line block ×4, first 2 shown]
	s_waitcnt lgkmcnt(22)
	v_add_f64 v[167:168], v[33:34], v[46:47]
	v_add_f64 v[18:19], v[2:3], v[6:7]
	;; [unrolled: 1-line block ×5, first 2 shown]
	s_waitcnt lgkmcnt(12)
	v_add_f64 v[199:200], v[83:84], v[91:92]
	v_add_f64 v[201:202], v[85:86], v[93:94]
	;; [unrolled: 1-line block ×4, first 2 shown]
	v_add_f64 v[175:176], v[46:47], -v[54:55]
	v_add_f64 v[191:192], v[70:71], -v[62:63]
	s_waitcnt lgkmcnt(8)
	v_add_f64 v[203:204], v[99:100], v[107:108]
	v_add_f64 v[207:208], v[101:102], v[109:110]
	s_waitcnt lgkmcnt(6)
	v_add_f64 v[209:210], v[91:92], v[115:116]
	v_add_f64 v[211:212], v[93:94], v[117:118]
	v_add_f64 v[151:152], v[2:3], -v[21:22]
	v_add_f64 v[161:162], v[6:7], -v[14:15]
	v_add_f64 v[169:170], v[35:36], v[48:49]
	v_add_f64 v[177:178], v[54:55], -v[46:47]
	v_add_f64 v[179:180], v[56:57], v[64:65]
	v_add_f64 v[183:184], v[48:49], -v[56:57]
	v_add_f64 v[185:186], v[56:57], -v[48:49]
	;; [unrolled: 1-line block ×3, first 2 shown]
	v_add_f64 v[48:49], v[48:49], v[72:73]
	v_add_f64 v[193:194], v[62:63], -v[70:71]
	v_add_f64 v[171:172], v[54:55], v[62:63]
	v_add_f64 v[181:182], v[54:55], -v[62:63]
	v_add_f64 v[223:224], v[60:61], v[68:69]
	v_add_f64 v[232:233], v[52:53], v[76:77]
	;; [unrolled: 1-line block ×3, first 2 shown]
	s_waitcnt lgkmcnt(5)
	v_add_f64 v[236:237], v[95:96], v[119:120]
	v_add_f64 v[239:240], v[105:106], v[113:114]
	;; [unrolled: 1-line block ×4, first 2 shown]
	v_add_f64 v[167:168], v[60:61], -v[52:53]
	v_add_f64 v[165:166], v[23:24], v[165:166]
	v_add_f64 v[23:24], v[68:69], -v[76:77]
	v_add_f64 v[251:252], v[89:90], v[97:98]
	v_add_f64 v[149:150], v[21:22], -v[2:3]
	v_add_f64 v[155:156], v[4:5], -v[8:9]
	;; [unrolled: 1-line block ×3, first 2 shown]
	v_add_f64 v[189:190], v[46:47], v[70:71]
	v_add_f64 v[205:206], v[101:102], -v[109:110]
	v_add_f64 v[213:214], v[91:92], -v[99:100]
	v_add_f64 v[215:216], v[99:100], -v[91:92]
	v_add_f64 v[221:222], v[58:59], v[66:67]
	v_add_f64 v[225:226], v[50:51], v[74:75]
	v_add_f64 v[243:244], v[99:100], -v[107:108]
	v_add_f64 v[245:246], v[93:94], -v[101:102]
	;; [unrolled: 1-line block ×4, first 2 shown]
	v_add_f64 v[91:92], v[87:88], v[95:96]
	v_add_f64 v[229:230], v[60:61], -v[68:69]
	v_add_f64 v[2:3], v[143:144], v[2:3]
	v_add_f64 v[4:5], v[145:146], v[4:5]
	v_add_f64 v[143:144], v[50:51], -v[58:59]
	v_add_f64 v[145:146], v[58:59], -v[50:51]
	v_fma_f64 v[18:19], v[18:19], -0.5, v[25:26]
	v_fma_f64 v[25:26], v[29:30], -0.5, v[25:26]
	;; [unrolled: 1-line block ×4, first 2 shown]
	v_add_f64 v[37:38], v[58:59], -v[66:67]
	v_add_f64 v[78:79], v[52:53], -v[60:61]
	v_add_f64 v[99:100], v[199:200], v[99:100]
	v_add_f64 v[101:102], v[201:202], v[101:102]
	s_waitcnt lgkmcnt(3)
	v_add_f64 v[199:200], v[125:126], v[129:130]
	s_waitcnt lgkmcnt(0)
	v_add_f64 v[201:202], v[137:138], v[141:142]
	v_add_f64 v[58:59], v[217:218], v[58:59]
	;; [unrolled: 1-line block ×5, first 2 shown]
	v_fma_f64 v[203:204], v[203:204], -0.5, v[83:84]
	v_fma_f64 v[209:210], v[209:210], -0.5, v[83:84]
	;; [unrolled: 1-line block ×4, first 2 shown]
	v_add_f64 v[83:84], v[123:124], v[127:128]
	v_add_f64 v[85:86], v[135:136], v[139:140]
	;; [unrolled: 1-line block ×3, first 2 shown]
	v_add_f64 v[191:192], v[107:108], -v[115:116]
	v_add_f64 v[163:164], v[16:17], -v[8:9]
	;; [unrolled: 1-line block ×4, first 2 shown]
	v_fma_f64 v[179:180], v[179:180], -0.5, v[35:36]
	v_fma_f64 v[35:36], v[48:49], -0.5, v[35:36]
	v_add_f64 v[48:49], v[95:96], -v[103:104]
	v_add_f64 v[80:81], v[117:118], -v[109:110]
	v_add_f64 v[151:152], v[151:152], v[161:162]
	v_add_f64 v[161:162], v[66:67], -v[74:75]
	v_add_f64 v[177:178], v[177:178], v[193:194]
	v_add_f64 v[193:194], v[119:120], -v[111:112]
	v_add_f64 v[173:174], v[56:57], -v[64:65]
	v_add_f64 v[56:57], v[169:170], v[56:57]
	v_fma_f64 v[223:224], v[223:224], -0.5, v[44:45]
	v_fma_f64 v[44:45], v[232:233], -0.5, v[44:45]
	;; [unrolled: 1-line block ×6, first 2 shown]
	v_add_f64 v[88:89], v[105:106], -v[97:98]
	v_add_f64 v[167:168], v[167:168], v[23:24]
	v_add_f64 v[23:24], v[113:114], -v[121:122]
	v_add_f64 v[169:170], v[105:106], -v[113:114]
	;; [unrolled: 1-line block ×3, first 2 shown]
	v_add_f64 v[105:106], v[251:252], v[105:106]
	v_add_f64 v[159:160], v[14:15], -v[6:7]
	v_add_f64 v[195:196], v[72:73], -v[64:65]
	v_fma_f64 v[171:172], v[171:172], -0.5, v[33:34]
	v_fma_f64 v[33:34], v[189:190], -0.5, v[33:34]
	v_add_f64 v[189:190], v[103:104], -v[95:96]
	v_fma_f64 v[221:222], v[221:222], -0.5, v[42:43]
	v_fma_f64 v[42:43], v[225:226], -0.5, v[42:43]
	v_add_f64 v[225:226], v[103:104], -v[111:112]
	v_add_f64 v[103:104], v[91:92], v[103:104]
	v_add_f64 v[90:91], v[135:136], -v[123:124]
	v_add_f64 v[251:252], v[123:124], -v[135:136]
	v_fma_f64 v[199:200], v[199:200], -0.5, v[133:134]
	v_fma_f64 v[201:202], v[201:202], -0.5, v[133:134]
	v_add_f64 v[133:134], v[123:124], -v[127:128]
	v_add_f64 v[123:124], v[217:218], v[123:124]
	v_add_f64 v[218:219], v[219:220], v[125:126]
	v_add_f64 v[21:22], v[21:22], -v[14:15]
	v_add_f64 v[46:47], v[46:47], -v[70:71]
	v_add_f64 v[52:53], v[52:53], -v[76:77]
	v_add_f64 v[0:1], v[125:126], -v[129:130]
	v_fma_f64 v[82:83], v[83:84], -0.5, v[131:132]
	v_fma_f64 v[85:86], v[85:86], -0.5, v[131:132]
	v_add_f64 v[131:132], v[137:138], -v[125:126]
	v_add_f64 v[125:126], v[125:126], -v[137:138]
	v_add_f64 v[191:192], v[215:216], v[191:192]
	v_add_f64 v[215:216], v[129:130], -v[141:142]
	v_add_f64 v[93:94], v[93:94], -v[117:118]
	;; [unrolled: 1-line block ×3, first 2 shown]
	v_add_f64 v[153:154], v[153:154], v[163:164]
	v_add_f64 v[163:164], v[76:77], -v[68:69]
	v_add_f64 v[185:186], v[185:186], v[197:198]
	v_add_f64 v[197:198], v[213:214], v[253:254]
	v_add_f64 v[213:214], v[121:122], -v[113:114]
	v_add_f64 v[80:81], v[245:246], v[80:81]
	v_add_f64 v[245:246], v[139:140], -v[127:128]
	;; [unrolled: 2-line block ×4, first 2 shown]
	v_add_f64 v[2:3], v[2:3], v[6:7]
	v_add_f64 v[4:5], v[4:5], v[8:9]
	v_add_f64 v[95:96], v[95:96], -v[119:120]
	v_add_f64 v[137:138], v[137:138], -v[141:142]
	v_add_f64 v[88:89], v[88:89], v[23:24]
	v_add_f64 v[6:7], v[54:55], v[62:63]
	;; [unrolled: 1-line block ×7, first 2 shown]
	v_add_f64 v[97:98], v[97:98], -v[121:122]
	v_add_f64 v[135:136], v[135:136], -v[139:140]
	v_add_f64 v[62:63], v[105:106], v[113:114]
	v_add_f64 v[149:150], v[149:150], v[159:160]
	v_add_f64 v[159:160], v[74:75], -v[66:67]
	v_add_f64 v[183:184], v[183:184], v[195:196]
	v_add_f64 v[195:196], v[109:110], -v[117:118]
	v_add_f64 v[66:67], v[218:219], v[129:130]
	v_fma_f64 v[109:110], v[187:188], s[4:5], v[171:172]
	v_fma_f64 v[99:100], v[147:148], s[4:5], v[18:19]
	;; [unrolled: 1-line block ×5, first 2 shown]
	v_add_f64 v[60:61], v[103:104], v[111:112]
	v_add_f64 v[64:65], v[123:124], v[127:128]
	v_fma_f64 v[68:69], v[155:156], s[12:13], v[25:26]
	v_fma_f64 v[25:26], v[155:156], s[4:5], v[25:26]
	;; [unrolled: 1-line block ×7, first 2 shown]
	v_mul_u32_u24_sdwa v220, v10, v12 dst_sel:DWORD dst_unused:UNUSED_PAD src0_sel:WORD_0 src1_sel:DWORD
	v_add_f64 v[125:126], v[125:126], v[215:216]
	v_fma_f64 v[29:30], v[21:22], s[4:5], v[29:30]
	v_fma_f64 v[113:114], v[46:47], s[12:13], v[179:180]
	;; [unrolled: 1-line block ×9, first 2 shown]
	v_add_f64 v[78:79], v[78:79], v[163:164]
	v_add_f64 v[163:164], v[141:142], -v[129:130]
	v_add_f64 v[213:214], v[231:232], v[213:214]
	v_add_f64 v[231:232], v[90:91], v[245:246]
	v_lshrrev_b32_e32 v90, 19, v220
	v_add_f64 v[161:162], v[189:190], v[161:162]
	v_add_f64 v[189:190], v[251:252], v[193:194]
	v_fma_f64 v[127:128], v[205:206], s[12:13], v[209:210]
	v_fma_f64 v[129:130], v[205:206], s[4:5], v[209:210]
	;; [unrolled: 1-line block ×4, first 2 shown]
	v_add_f64 v[14:15], v[2:3], v[14:15]
	v_add_f64 v[16:17], v[4:5], v[16:17]
	v_fma_f64 v[2:3], v[50:51], s[12:13], v[223:224]
	v_fma_f64 v[4:5], v[50:51], s[4:5], v[223:224]
	v_add_f64 v[6:7], v[6:7], v[70:71]
	v_add_f64 v[8:9], v[8:9], v[72:73]
	v_fma_f64 v[70:71], v[225:226], s[4:5], v[241:242]
	v_fma_f64 v[72:73], v[225:226], s[12:13], v[241:242]
	;; [unrolled: 4-line block ×3, first 2 shown]
	v_fma_f64 v[201:202], v[133:134], s[12:13], v[201:202]
	v_add_f64 v[56:57], v[56:57], v[74:75]
	v_add_f64 v[58:59], v[58:59], v[76:77]
	v_fma_f64 v[74:75], v[95:96], s[12:13], v[239:240]
	v_fma_f64 v[76:77], v[95:96], s[4:5], v[239:240]
	;; [unrolled: 1-line block ×7, first 2 shown]
	v_add_f64 v[62:63], v[62:63], v[121:122]
	v_fma_f64 v[121:122], v[135:136], s[4:5], v[199:200]
	v_fma_f64 v[27:28], v[157:158], s[12:13], v[27:28]
	v_add_f64 v[66:67], v[66:67], v[141:142]
	v_fma_f64 v[109:110], v[173:174], s[6:7], v[109:110]
	v_fma_f64 v[101:102], v[21:22], s[10:11], v[101:102]
	;; [unrolled: 1-line block ×6, first 2 shown]
	v_add_f64 v[64:65], v[64:65], v[139:140]
	v_fma_f64 v[68:69], v[147:148], s[6:7], v[68:69]
	v_fma_f64 v[139:140], v[147:148], s[10:11], v[25:26]
	;; [unrolled: 1-line block ×7, first 2 shown]
	v_add_f64 v[60:61], v[60:61], v[119:120]
	v_mul_u32_u24_sdwa v92, v39, v12 dst_sel:DWORD dst_unused:UNUSED_PAD src0_sel:WORD_0 src1_sel:DWORD
	v_add_f64 v[159:160], v[143:144], v[159:160]
	v_fma_f64 v[29:30], v[157:158], s[6:7], v[29:30]
	v_fma_f64 v[157:158], v[52:53], s[6:7], v[211:212]
	;; [unrolled: 1-line block ×6, first 2 shown]
	v_add_f64 v[163:164], v[131:132], v[163:164]
	v_lshrrev_b32_e32 v132, 19, v92
	v_fma_f64 v[203:204], v[93:94], s[12:13], v[203:204]
	v_fma_f64 v[222:223], v[169:170], s[12:13], v[235:236]
	;; [unrolled: 1-line block ×25, first 2 shown]
	v_add_f64 v[2:3], v[14:15], v[6:7]
	v_add_f64 v[4:5], v[16:17], v[8:9]
	;; [unrolled: 1-line block ×3, first 2 shown]
	v_add_f64 v[35:36], v[62:63], -v[66:67]
	v_fma_f64 v[62:63], v[175:176], s[14:15], v[109:110]
	v_add_f64 v[6:7], v[14:15], -v[6:7]
	v_add_f64 v[8:9], v[16:17], -v[8:9]
	v_add_f64 v[14:15], v[23:24], v[56:57]
	v_add_f64 v[16:17], v[54:55], v[58:59]
	v_add_f64 v[21:22], v[23:24], -v[56:57]
	v_add_f64 v[23:24], v[54:55], -v[58:59]
	v_fma_f64 v[58:59], v[165:166], s[14:15], v[101:102]
	v_fma_f64 v[66:67], v[149:150], s[14:15], v[99:100]
	;; [unrolled: 1-line block ×10, first 2 shown]
	v_add_f64 v[25:26], v[60:61], v[64:65]
	v_add_f64 v[33:34], v[60:61], -v[64:65]
	v_fma_f64 v[209:210], v[249:250], s[12:13], v[207:208]
	v_fma_f64 v[50:51], v[159:160], s[14:15], v[50:51]
	;; [unrolled: 1-line block ×13, first 2 shown]
	v_mul_lo_u16 v84, 0xcd, v31
	v_mul_u32_u24_e32 v31, 10, v228
	v_fma_f64 v[119:120], v[133:134], s[10:11], v[119:120]
	v_fma_f64 v[109:110], v[78:79], s[14:15], v[193:194]
	;; [unrolled: 1-line block ×4, first 2 shown]
	v_lshl_add_u32 v31, v31, 4, 0
	v_fma_f64 v[74:75], v[125:126], s[14:15], v[115:116]
	v_fma_f64 v[94:95], v[189:190], s[14:15], v[94:95]
	v_add_f64 v[195:196], v[247:248], v[195:196]
	v_fma_f64 v[18:19], v[155:156], s[10:11], v[18:19]
	v_fma_f64 v[155:156], v[249:250], s[6:7], v[179:180]
	;; [unrolled: 1-line block ×10, first 2 shown]
	s_barrier
	buffer_gl0_inv
	v_fma_f64 v[64:65], v[183:184], s[14:15], v[113:114]
	ds_write_b128 v31, v[2:5]
	ds_write_b128 v31, v[6:9] offset:80
	ds_write_b128 v31, v[14:17] offset:16000
	;; [unrolled: 1-line block ×5, first 2 shown]
	v_mul_f64 v[2:3], v[62:63], s[16:17]
	v_mul_f64 v[4:5], v[62:63], s[10:11]
	;; [unrolled: 1-line block ×8, first 2 shown]
	v_fma_f64 v[181:182], v[243:244], s[10:11], v[209:210]
	v_mul_f64 v[25:26], v[50:51], s[16:17]
	v_mul_f64 v[27:28], v[50:51], s[10:11]
	;; [unrolled: 1-line block ×6, first 2 shown]
	v_fma_f64 v[179:180], v[205:206], s[10:11], v[203:204]
	v_fma_f64 v[187:188], v[243:244], s[6:7], v[207:208]
	;; [unrolled: 1-line block ×4, first 2 shown]
	v_mul_f64 v[76:77], v[139:140], s[16:17]
	v_mul_f64 v[96:97], v[37:38], s[16:17]
	v_fma_f64 v[119:120], v[163:164], s[14:15], v[119:120]
	v_mul_f64 v[117:118], v[78:79], s[16:17]
	v_mul_f64 v[78:79], v[78:79], s[10:11]
	v_mul_f64 v[121:122], v[74:75], s[4:5]
	v_mul_f64 v[125:126], v[94:95], s[12:13]
	v_fma_f64 v[18:19], v[149:150], s[14:15], v[18:19]
	v_fma_f64 v[133:134], v[195:196], s[14:15], v[155:156]
	v_mul_f64 v[149:150], v[70:71], s[14:15]
	v_mul_f64 v[151:152], v[72:73], s[14:15]
	;; [unrolled: 1-line block ×3, first 2 shown]
	v_fma_f64 v[29:30], v[153:154], s[14:15], v[29:30]
	v_mul_f64 v[153:154], v[0:1], s[16:17]
	v_fma_f64 v[157:158], v[64:65], s[6:7], v[2:3]
	v_fma_f64 v[64:65], v[64:65], s[16:17], v[4:5]
	;; [unrolled: 1-line block ×5, first 2 shown]
	v_fma_f64 v[46:47], v[46:47], s[4:5], -v[14:15]
	v_fma_f64 v[103:104], v[103:104], s[12:13], -v[16:17]
	v_fma_f64 v[107:108], v[107:108], s[6:7], -v[21:22]
	v_fma_f64 v[105:106], v[105:106], s[10:11], -v[23:24]
	v_fma_f64 v[111:112], v[197:198], s[14:15], v[173:174]
	v_fma_f64 v[113:114], v[80:81], s[14:15], v[181:182]
	v_fma_f64 v[159:160], v[109:110], s[6:7], v[25:26]
	v_fma_f64 v[109:110], v[109:110], s[16:17], v[27:28]
	v_fma_f64 v[127:128], v[191:192], s[14:15], v[127:128]
	v_fma_f64 v[129:130], v[195:196], s[14:15], v[129:130]
	v_fma_f64 v[115:116], v[161:162], s[14:15], v[199:200]
	v_fma_f64 v[123:124], v[123:124], s[14:15], v[33:34]
	v_fma_f64 v[161:162], v[52:53], s[14:15], v[35:36]
	v_fma_f64 v[92:93], v[191:192], s[14:15], v[92:93]
	v_fma_f64 v[163:164], v[44:45], s[4:5], -v[50:51]
	v_fma_f64 v[165:166], v[42:43], s[12:13], -v[62:63]
	v_fma_f64 v[141:142], v[197:198], s[14:15], v[179:180]
	v_fma_f64 v[80:81], v[80:81], s[14:15], v[187:188]
	v_fma_f64 v[37:38], v[37:38], s[6:7], -v[76:77]
	v_fma_f64 v[96:97], v[139:140], s[10:11], -v[96:97]
	v_fma_f64 v[117:118], v[119:120], s[6:7], v[117:118]
	v_fma_f64 v[78:79], v[119:120], s[16:17], v[78:79]
	;; [unrolled: 1-line block ×4, first 2 shown]
	v_fma_f64 v[125:126], v[72:73], s[4:5], -v[149:150]
	v_fma_f64 v[139:140], v[70:71], s[12:13], -v[151:152]
	;; [unrolled: 1-line block ×4, first 2 shown]
	v_and_b32_e32 v217, 0xff, v227
	v_add_f64 v[2:3], v[66:67], v[157:158]
	v_add_f64 v[4:5], v[68:69], v[64:65]
	;; [unrolled: 1-line block ×6, first 2 shown]
	v_lshrrev_b16 v143, 11, v84
	v_mul_lo_u16 v84, 0xcd, v217
	v_add_f64 v[42:43], v[18:19], v[107:108]
	v_add_f64 v[44:45], v[29:30], v[105:106]
	v_add_f64 v[6:7], v[66:67], -v[157:158]
	v_add_f64 v[8:9], v[68:69], -v[64:65]
	;; [unrolled: 1-line block ×6, first 2 shown]
	v_mul_u32_u24_sdwa v87, v255, v12 dst_sel:DWORD dst_unused:UNUSED_PAD src0_sel:WORD_0 src1_sel:DWORD
	v_add_f64 v[46:47], v[18:19], -v[107:108]
	v_add_f64 v[48:49], v[29:30], -v[105:106]
	v_mul_u32_u24_sdwa v237, v11, v12 dst_sel:DWORD dst_unused:UNUSED_PAD src0_sel:WORD_0 src1_sel:DWORD
	v_mul_u32_u24_sdwa v247, v13, v12 dst_sel:DWORD dst_unused:UNUSED_PAD src0_sel:WORD_0 src1_sel:DWORD
	;; [unrolled: 1-line block ×5, first 2 shown]
	v_mul_lo_u16 v12, v143, 10
	v_lshrrev_b16 v144, 11, v84
	v_add_f64 v[50:51], v[111:112], v[159:160]
	v_add_f64 v[52:53], v[113:114], v[109:110]
	;; [unrolled: 1-line block ×8, first 2 shown]
	v_lshrrev_b32_e32 v131, 19, v87
	v_add_f64 v[54:55], v[111:112], -v[159:160]
	v_add_f64 v[56:57], v[113:114], -v[109:110]
	v_sub_nc_u16 v87, v228, v12
	v_mul_lo_u16 v12, v144, 10
	v_add_f64 v[62:63], v[127:128], -v[123:124]
	v_add_f64 v[64:65], v[129:130], -v[161:162]
	;; [unrolled: 1-line block ×6, first 2 shown]
	v_add_f64 v[96:97], v[82:83], v[117:118]
	v_add_f64 v[98:99], v[135:136], v[78:79]
	v_lshrrev_b32_e32 v91, 19, v237
	v_mul_lo_u16 v237, v131, 10
	v_add_f64 v[104:105], v[115:116], v[119:120]
	v_add_f64 v[106:107], v[145:146], v[121:122]
	v_lshlrev_b32_sdwa v253, v40, v87 dst_sel:DWORD dst_unused:UNUSED_PAD src0_sel:DWORD src1_sel:BYTE_0
	v_sub_nc_u16 v84, v227, v12
	v_add_f64 v[100:101], v[82:83], -v[117:118]
	v_add_f64 v[108:109], v[115:116], -v[119:120]
	;; [unrolled: 1-line block ×3, first 2 shown]
	v_add_f64 v[112:113], v[147:148], v[125:126]
	v_add_f64 v[114:115], v[88:89], v[139:140]
	v_add_f64 v[116:117], v[147:148], -v[125:126]
	v_add_f64 v[122:123], v[137:138], v[0:1]
	v_add_f64 v[126:127], v[137:138], -v[0:1]
	v_mul_lo_u16 v0, v132, 10
	v_add_f64 v[120:121], v[85:86], v[149:150]
	v_add_f64 v[102:103], v[135:136], -v[78:79]
	v_add_f64 v[118:119], v[88:89], -v[139:140]
	;; [unrolled: 1-line block ×3, first 2 shown]
	ds_write_b128 v31, v[2:5] offset:16
	ds_write_b128 v31, v[14:17] offset:32
	ds_write_b128 v31, v[25:28] offset:48
	ds_write_b128 v31, v[42:45] offset:64
	ds_write_b128 v31, v[6:9] offset:96
	ds_write_b128 v31, v[21:24] offset:112
	ds_write_b128 v31, v[33:36] offset:128
	ds_write_b128 v31, v[46:49] offset:144
	ds_write_b128 v31, v[50:53] offset:16016
	ds_write_b128 v31, v[58:61] offset:16032
	ds_write_b128 v31, v[66:69] offset:16048
	ds_write_b128 v31, v[74:77] offset:16064
	ds_write_b128 v31, v[54:57] offset:16096
	ds_write_b128 v31, v[62:65] offset:16112
	ds_write_b128 v31, v[70:73] offset:16128
	ds_write_b128 v31, v[92:95] offset:16144
	ds_write_b128 v31, v[96:99] offset:32016
	ds_write_b128 v31, v[104:107] offset:32032
	ds_write_b128 v31, v[112:115] offset:32048
	ds_write_b128 v31, v[120:123] offset:32064
	ds_write_b128 v31, v[100:103] offset:32096
	ds_write_b128 v31, v[108:111] offset:32112
	ds_write_b128 v31, v[116:119] offset:32128
	ds_write_b128 v31, v[124:127] offset:32144
	v_sub_nc_u16 v92, v255, v237
	s_waitcnt lgkmcnt(0)
	s_barrier
	buffer_gl0_inv
	global_load_dwordx4 v[72:75], v253, s[8:9]
	v_lshlrev_b32_sdwa v1, v40, v84 dst_sel:DWORD dst_unused:UNUSED_PAD src0_sel:DWORD src1_sel:BYTE_0
	v_sub_nc_u16 v93, v39, v0
	global_load_dwordx4 v[68:71], v253, s[8:9] offset:16
	v_mul_lo_u16 v2, v90, 10
	v_lshlrev_b32_sdwa v0, v40, v92 dst_sel:DWORD dst_unused:UNUSED_PAD src0_sel:DWORD src1_sel:WORD_0
	v_lshrrev_b32_e32 v96, 19, v247
	s_clause 0x1
	global_load_dwordx4 v[64:67], v1, s[8:9]
	global_load_dwordx4 v[48:51], v1, s[8:9] offset:16
	v_lshlrev_b32_sdwa v1, v40, v93 dst_sel:DWORD dst_unused:UNUSED_PAD src0_sel:DWORD src1_sel:WORD_0
	v_sub_nc_u16 v94, v10, v2
	s_clause 0x1
	global_load_dwordx4 v[28:31], v0, s[8:9]
	global_load_dwordx4 v[16:19], v0, s[8:9] offset:16
	v_mul_lo_u16 v3, v91, 10
	v_mul_lo_u16 v8, v96, 10
	global_load_dwordx4 v[4:7], v1, s[8:9]
	v_lshrrev_b32_e32 v95, 19, v248
	v_lshrrev_b32_e32 v100, 19, v245
	;; [unrolled: 1-line block ×3, first 2 shown]
	v_lshlrev_b32_sdwa v9, v40, v94 dst_sel:DWORD dst_unused:UNUSED_PAD src0_sel:DWORD src1_sel:WORD_0
	v_sub_nc_u16 v97, v11, v3
	v_sub_nc_u16 v98, v13, v8
	v_mul_lo_u16 v21, v95, 10
	v_mul_lo_u16 v33, v100, 10
	global_load_dwordx4 v[12:15], v9, s[8:9]
	v_mul_lo_u16 v42, v102, 10
	s_clause 0x1
	global_load_dwordx4 v[0:3], v1, s[8:9] offset:16
	global_load_dwordx4 v[8:11], v9, s[8:9] offset:16
	v_lshlrev_b32_sdwa v22, v40, v97 dst_sel:DWORD dst_unused:UNUSED_PAD src0_sel:DWORD src1_sel:WORD_0
	v_lshlrev_b32_sdwa v34, v40, v98 dst_sel:DWORD dst_unused:UNUSED_PAD src0_sel:DWORD src1_sel:WORD_0
	v_sub_nc_u16 v99, v20, v21
	v_sub_nc_u16 v101, v32, v33
	;; [unrolled: 1-line block ×3, first 2 shown]
	s_clause 0x3
	global_load_dwordx4 v[24:27], v22, s[8:9]
	global_load_dwordx4 v[36:39], v34, s[8:9]
	global_load_dwordx4 v[20:23], v22, s[8:9] offset:16
	global_load_dwordx4 v[32:35], v34, s[8:9] offset:16
	v_lshlrev_b32_sdwa v43, v40, v99 dst_sel:DWORD dst_unused:UNUSED_PAD src0_sel:DWORD src1_sel:WORD_0
	v_lshlrev_b32_sdwa v41, v40, v101 dst_sel:DWORD dst_unused:UNUSED_PAD src0_sel:DWORD src1_sel:WORD_0
	;; [unrolled: 1-line block ×3, first 2 shown]
	v_and_b32_e32 v80, 0xff, v228
	v_mov_b32_e32 v81, 0x1e0
	s_clause 0x5
	global_load_dwordx4 v[56:59], v43, s[8:9]
	global_load_dwordx4 v[52:55], v43, s[8:9] offset:16
	global_load_dwordx4 v[44:47], v41, s[8:9]
	global_load_dwordx4 v[40:43], v41, s[8:9] offset:16
	;; [unrolled: 2-line block ×3, first 2 shown]
	v_mul_lo_u16 v80, 0x89, v80
	v_mov_b32_e32 v108, 4
	v_mul_u32_u24_e32 v86, 0x1e0, v90
	v_mov_b32_e32 v82, 9
	v_mul_u32_u24_e32 v83, 0x1e0, v131
	v_lshrrev_b16 v109, 12, v80
	v_mul_u32_u24_sdwa v80, v143, v81 dst_sel:DWORD dst_unused:UNUSED_PAD src0_sel:WORD_0 src1_sel:DWORD
	v_lshlrev_b32_sdwa v87, v108, v87 dst_sel:DWORD dst_unused:UNUSED_PAD src0_sel:DWORD src1_sel:BYTE_0
	v_mul_u32_u24_e32 v85, 0x1e0, v132
	v_mul_u32_u24_e32 v88, 0x1e0, v91
	v_mul_lo_u16 v90, v109, 30
	v_mul_u32_u24_e32 v89, 0x1e0, v96
	v_mul_u32_u24_e32 v91, 0x1e0, v95
	;; [unrolled: 1-line block ×4, first 2 shown]
	v_sub_nc_u16 v110, v228, v90
	v_mul_u32_u24_sdwa v81, v144, v81 dst_sel:DWORD dst_unused:UNUSED_PAD src0_sel:WORD_0 src1_sel:DWORD
	v_lshlrev_b32_sdwa v90, v108, v92 dst_sel:DWORD dst_unused:UNUSED_PAD src0_sel:DWORD src1_sel:WORD_0
	v_lshlrev_b32_sdwa v92, v108, v93 dst_sel:DWORD dst_unused:UNUSED_PAD src0_sel:DWORD src1_sel:WORD_0
	;; [unrolled: 1-line block ×8, first 2 shown]
	v_mul_u32_u24_sdwa v101, v110, v82 dst_sel:DWORD dst_unused:UNUSED_PAD src0_sel:BYTE_0 src1_sel:DWORD
	v_add3_u32 v107, 0, v80, v87
	v_lshlrev_b32_sdwa v80, v108, v84 dst_sel:DWORD dst_unused:UNUSED_PAD src0_sel:DWORD src1_sel:BYTE_0
	v_add3_u32 v83, 0, v83, v90
	v_add3_u32 v226, 0, v85, v92
	;; [unrolled: 1-line block ×8, first 2 shown]
	v_lshlrev_b32_e32 v84, 4, v101
	v_add3_u32 v237, 0, v81, v80
	ds_read_b128 v[85:88], v238 offset:17600
	ds_read_b128 v[89:92], v238 offset:19200
	;; [unrolled: 1-line block ×21, first 2 shown]
	ds_read_b128 v[175:178], v238
	ds_read_b128 v[179:182], v238 offset:1600
	ds_read_b128 v[183:186], v238 offset:3200
	;; [unrolled: 1-line block ×8, first 2 shown]
	s_waitcnt vmcnt(0) lgkmcnt(0)
	s_barrier
	buffer_gl0_inv
	v_lshlrev_b32_sdwa v110, v108, v110 dst_sel:DWORD dst_unused:UNUSED_PAD src0_sel:DWORD src1_sel:BYTE_0
	v_mul_f64 v[80:81], v[103:104], v[74:75]
	v_mul_f64 v[74:75], v[101:102], v[74:75]
	;; [unrolled: 1-line block ×14, first 2 shown]
	v_fma_f64 v[80:81], v[101:102], v[72:73], -v[80:81]
	v_fma_f64 v[72:73], v[103:104], v[72:73], v[74:75]
	v_mul_f64 v[74:75], v[129:130], v[14:15]
	v_mul_f64 v[14:15], v[127:128], v[14:15]
	;; [unrolled: 1-line block ×6, first 2 shown]
	v_fma_f64 v[103:104], v[115:116], v[68:69], -v[105:106]
	v_fma_f64 v[68:69], v[117:118], v[68:69], v[70:71]
	v_fma_f64 v[85:86], v[85:86], v[64:65], -v[211:212]
	v_mul_f64 v[70:71], v[141:142], v[26:27]
	v_mul_f64 v[26:27], v[139:140], v[26:27]
	;; [unrolled: 1-line block ×4, first 2 shown]
	v_fma_f64 v[64:65], v[87:88], v[64:65], v[66:67]
	v_mul_f64 v[66:67], v[145:146], v[38:39]
	v_mul_f64 v[38:39], v[143:144], v[38:39]
	;; [unrolled: 1-line block ×4, first 2 shown]
	v_fma_f64 v[93:94], v[93:94], v[48:49], -v[213:214]
	v_fma_f64 v[48:49], v[95:96], v[48:49], v[50:51]
	v_mul_f64 v[50:51], v[157:158], v[58:59]
	v_mul_f64 v[58:59], v[155:156], v[58:59]
	v_mul_f64 v[95:96], v[165:166], v[54:55]
	v_fma_f64 v[89:90], v[89:90], v[28:29], -v[215:216]
	v_fma_f64 v[28:29], v[91:92], v[28:29], v[30:31]
	v_mul_f64 v[30:31], v[163:164], v[54:55]
	v_mul_f64 v[54:55], v[161:162], v[46:47]
	v_mul_f64 v[46:47], v[159:160], v[46:47]
	v_mul_f64 v[91:92], v[169:170], v[42:43]
	v_fma_f64 v[97:98], v[97:98], v[16:17], -v[218:219]
	v_fma_f64 v[16:17], v[99:100], v[16:17], v[18:19]
	v_mul_f64 v[18:19], v[167:168], v[42:43]
	;; [unrolled: 6-line block ×3, first 2 shown]
	v_fma_f64 v[78:79], v[131:132], v[0:1], -v[222:223]
	v_fma_f64 v[117:118], v[133:134], v[0:1], v[2:3]
	v_fma_f64 v[0:1], v[127:128], v[12:13], -v[74:75]
	v_fma_f64 v[2:3], v[129:130], v[12:13], v[14:15]
	;; [unrolled: 2-line block ×13, first 2 shown]
	v_add_f64 v[6:7], v[80:81], v[103:104]
	v_add_f64 v[54:55], v[72:73], v[68:69]
	v_add_f64 v[56:57], v[177:178], v[72:73]
	v_add_f64 v[58:59], v[175:176], v[80:81]
	v_add_f64 v[66:67], v[85:86], v[93:94]
	v_add_f64 v[70:71], v[64:65], v[48:49]
	v_add_f64 v[62:63], v[80:81], -v[103:104]
	v_add_f64 v[76:77], v[179:180], v[85:86]
	v_add_f64 v[80:81], v[85:86], -v[93:94]
	v_add_f64 v[85:86], v[89:90], v[97:98]
	v_add_f64 v[87:88], v[28:29], v[16:17]
	v_add_f64 v[60:61], v[72:73], -v[68:69]
	v_add_f64 v[72:73], v[181:182], v[64:65]
	;; [unrolled: 3-line block ×3, first 2 shown]
	v_add_f64 v[105:106], v[4:5], v[117:118]
	v_add_f64 v[121:122], v[187:188], v[115:116]
	;; [unrolled: 1-line block ×15, first 2 shown]
	v_add_f64 v[169:170], v[32:33], -v[30:31]
	v_add_f64 v[32:33], v[38:39], v[46:47]
	v_add_f64 v[173:174], v[44:45], v[40:41]
	v_add_f64 v[211:212], v[209:210], v[44:45]
	v_add_f64 v[213:214], v[207:208], v[38:39]
	v_add_f64 v[215:216], v[44:45], -v[40:41]
	v_add_f64 v[218:219], v[38:39], -v[46:47]
	v_add_f64 v[38:39], v[18:19], v[50:51]
	v_add_f64 v[44:45], v[42:43], v[52:53]
	;; [unrolled: 1-line block ×3, first 2 shown]
	v_add_f64 v[224:225], v[42:43], -v[52:53]
	v_fma_f64 v[42:43], v[6:7], -0.5, v[175:176]
	v_fma_f64 v[54:55], v[54:55], -0.5, v[177:178]
	v_add_f64 v[64:65], v[64:65], -v[48:49]
	v_add_f64 v[131:132], v[191:192], v[0:1]
	v_add_f64 v[133:134], v[2:3], -v[101:102]
	v_add_f64 v[135:136], v[0:1], -v[74:75]
	v_add_f64 v[2:3], v[56:57], v[68:69]
	v_add_f64 v[0:1], v[58:59], v[103:104]
	v_fma_f64 v[56:57], v[66:67], -0.5, v[179:180]
	v_fma_f64 v[58:59], v[70:71], -0.5, v[181:182]
	v_add_f64 v[141:142], v[197:198], v[10:11]
	v_add_f64 v[143:144], v[195:196], v[8:9]
	v_add_f64 v[155:156], v[199:200], v[12:13]
	v_add_f64 v[222:223], v[111:112], v[18:19]
	v_add_f64 v[89:90], v[89:90], -v[97:98]
	v_fma_f64 v[66:67], v[85:86], -0.5, v[183:184]
	v_fma_f64 v[68:69], v[87:88], -0.5, v[185:186]
	v_add_f64 v[123:124], v[4:5], -v[117:118]
	v_add_f64 v[115:116], v[115:116], -v[78:79]
	v_add_f64 v[6:7], v[72:73], v[48:49]
	v_fma_f64 v[70:71], v[28:29], -0.5, v[187:188]
	v_fma_f64 v[72:73], v[105:106], -0.5, v[189:190]
	v_add_f64 v[159:160], v[12:13], -v[36:37]
	v_add_f64 v[4:5], v[76:77], v[93:94]
	v_add_f64 v[12:13], v[121:122], v[78:79]
	v_fma_f64 v[76:77], v[125:126], -0.5, v[191:192]
	v_fma_f64 v[78:79], v[127:128], -0.5, v[193:194]
	v_add_f64 v[145:146], v[10:11], -v[20:21]
	v_add_f64 v[147:148], v[8:9], -v[24:25]
	v_fma_f64 v[85:86], v[137:138], -0.5, v[195:196]
	v_fma_f64 v[87:88], v[139:140], -0.5, v[197:198]
	v_add_f64 v[153:154], v[201:202], v[14:15]
	v_add_f64 v[157:158], v[14:15], -v[26:27]
	v_add_f64 v[10:11], v[91:92], v[16:17]
	v_add_f64 v[8:9], v[95:96], v[97:98]
	v_fma_f64 v[91:92], v[149:150], -0.5, v[199:200]
	v_fma_f64 v[95:96], v[151:152], -0.5, v[201:202]
	v_add_f64 v[171:172], v[22:23], -v[34:35]
	v_add_f64 v[229:230], v[18:19], -v[50:51]
	v_add_f64 v[18:19], v[129:130], v[101:102]
	v_fma_f64 v[101:102], v[161:162], -0.5, v[203:204]
	v_fma_f64 v[103:104], v[163:164], -0.5, v[205:206]
	v_add_f64 v[14:15], v[119:120], v[117:118]
	v_add_f64 v[28:29], v[167:168], v[34:35]
	v_fma_f64 v[105:106], v[32:33], -0.5, v[207:208]
	v_fma_f64 v[117:118], v[173:174], -0.5, v[209:210]
	v_add_f64 v[34:35], v[211:212], v[40:41]
	v_fma_f64 v[121:122], v[38:39], -0.5, v[111:112]
	v_fma_f64 v[125:126], v[44:45], -0.5, v[113:114]
	v_fma_f64 v[40:41], v[60:61], s[0:1], v[42:43]
	v_fma_f64 v[44:45], v[60:61], s[18:19], v[42:43]
	;; [unrolled: 1-line block ×3, first 2 shown]
	v_add_f64 v[32:33], v[213:214], v[46:47]
	v_fma_f64 v[46:47], v[62:63], s[0:1], v[54:55]
	ds_write_b128 v107, v[0:3]
	v_fma_f64 v[0:1], v[64:65], s[0:1], v[56:57]
	v_fma_f64 v[2:3], v[80:81], s[18:19], v[58:59]
	v_add_f64 v[22:23], v[141:142], v[20:21]
	v_add_f64 v[20:21], v[143:144], v[24:25]
	;; [unrolled: 1-line block ×4, first 2 shown]
	v_fma_f64 v[48:49], v[64:65], s[18:19], v[56:57]
	v_fma_f64 v[50:51], v[80:81], s[0:1], v[58:59]
	v_add_f64 v[38:39], v[220:221], v[52:53]
	v_fma_f64 v[52:53], v[99:100], s[0:1], v[66:67]
	v_fma_f64 v[54:55], v[89:90], s[18:19], v[68:69]
	;; [unrolled: 1-line block ×8, first 2 shown]
	v_add_f64 v[16:17], v[131:132], v[74:75]
	v_fma_f64 v[68:69], v[133:134], s[0:1], v[76:77]
	v_fma_f64 v[70:71], v[135:136], s[18:19], v[78:79]
	v_fma_f64 v[72:73], v[133:134], s[18:19], v[76:77]
	v_fma_f64 v[74:75], v[135:136], s[0:1], v[78:79]
	v_fma_f64 v[76:77], v[145:146], s[0:1], v[85:86]
	v_fma_f64 v[78:79], v[147:148], s[18:19], v[87:88]
	v_fma_f64 v[85:86], v[145:146], s[18:19], v[85:86]
	v_fma_f64 v[87:88], v[147:148], s[0:1], v[87:88]
	v_add_f64 v[26:27], v[153:154], v[26:27]
	v_fma_f64 v[89:90], v[157:158], s[0:1], v[91:92]
	v_fma_f64 v[93:94], v[157:158], s[18:19], v[91:92]
	;; [unrolled: 1-line block ×4, first 2 shown]
	v_add_f64 v[30:31], v[165:166], v[30:31]
	v_fma_f64 v[97:98], v[169:170], s[0:1], v[101:102]
	v_fma_f64 v[99:100], v[171:172], s[18:19], v[103:104]
	;; [unrolled: 1-line block ×12, first 2 shown]
	ds_write_b128 v107, v[40:43] offset:160
	ds_write_b128 v107, v[44:47] offset:320
	ds_write_b128 v237, v[4:7]
	ds_write_b128 v237, v[0:3] offset:160
	ds_write_b128 v237, v[48:51] offset:320
	ds_write_b128 v83, v[8:11]
	;; [unrolled: 3-line block ×9, first 2 shown]
	ds_write_b128 v236, v[119:122] offset:160
	ds_write_b128 v236, v[123:126] offset:320
	v_mul_lo_u16 v8, 0x89, v217
	s_waitcnt lgkmcnt(0)
	s_barrier
	buffer_gl0_inv
	s_clause 0x1
	global_load_dwordx4 v[4:7], v84, s[8:9] offset:320
	global_load_dwordx4 v[0:3], v84, s[8:9] offset:336
	v_lshrrev_b16 v111, 12, v8
	s_clause 0x1
	global_load_dwordx4 v[16:19], v84, s[8:9] offset:352
	global_load_dwordx4 v[12:15], v84, s[8:9] offset:368
	v_mov_b32_e32 v20, 0x8889
	global_load_dwordx4 v[72:75], v84, s[8:9] offset:400
	v_mul_lo_u16 v8, v111, 30
	s_clause 0x1
	global_load_dwordx4 v[68:71], v84, s[8:9] offset:416
	global_load_dwordx4 v[64:67], v84, s[8:9] offset:432
	v_mul_u32_u24_sdwa v20, v255, v20 dst_sel:DWORD dst_unused:UNUSED_PAD src0_sel:WORD_0 src1_sel:DWORD
	global_load_dwordx4 v[60:63], v84, s[8:9] offset:448
	v_sub_nc_u16 v112, v227, v8
	global_load_dwordx4 v[8:11], v84, s[8:9] offset:384
	v_mov_b32_e32 v117, 0x12c0
	v_lshrrev_b32_e32 v113, 20, v20
	v_mul_u32_u24_e32 v115, 9, v228
	v_mul_u32_u24_sdwa v21, v112, v82 dst_sel:DWORD dst_unused:UNUSED_PAD src0_sel:BYTE_0 src1_sel:DWORD
	v_lshlrev_b32_sdwa v122, v108, v112 dst_sel:DWORD dst_unused:UNUSED_PAD src0_sel:DWORD src1_sel:BYTE_0
	v_mul_u32_u24_sdwa v121, v109, v117 dst_sel:DWORD dst_unused:UNUSED_PAD src0_sel:WORD_0 src1_sel:DWORD
	v_mul_lo_u16 v24, v113, 30
	v_mul_u32_u24_sdwa v111, v111, v117 dst_sel:DWORD dst_unused:UNUSED_PAD src0_sel:WORD_0 src1_sel:DWORD
	v_lshlrev_b32_e32 v32, 4, v21
	s_clause 0x1
	global_load_dwordx4 v[52:55], v32, s[8:9] offset:320
	global_load_dwordx4 v[48:51], v32, s[8:9] offset:336
	v_sub_nc_u16 v114, v255, v24
	s_clause 0x5
	global_load_dwordx4 v[44:47], v32, s[8:9] offset:352
	global_load_dwordx4 v[20:23], v32, s[8:9] offset:368
	;; [unrolled: 1-line block ×6, first 2 shown]
	v_add3_u32 v112, 0, v121, v110
	v_mul_u32_u24_sdwa v33, v114, v82 dst_sel:DWORD dst_unused:UNUSED_PAD src0_sel:WORD_0 src1_sel:DWORD
	v_add3_u32 v111, 0, v111, v122
	v_mul_u32_u24_e32 v113, 0x12c0, v113
	v_lshlrev_b32_sdwa v114, v108, v114 dst_sel:DWORD dst_unused:UNUSED_PAD src0_sel:DWORD src1_sel:WORD_0
	v_lshlrev_b32_e32 v115, 4, v115
	v_lshlrev_b32_e32 v104, 4, v33
	s_clause 0x9
	global_load_dwordx4 v[32:35], v32, s[8:9] offset:448
	global_load_dwordx4 v[56:59], v104, s[8:9] offset:320
	;; [unrolled: 1-line block ×10, first 2 shown]
	ds_read_b128 v[117:120], v238 offset:4800
	ds_read_b128 v[121:124], v238 offset:19200
	ds_read_b128 v[125:128], v238 offset:6400
	ds_read_b128 v[129:132], v238 offset:9600
	ds_read_b128 v[133:136], v238 offset:8000
	ds_read_b128 v[137:140], v238 offset:14400
	ds_read_b128 v[141:144], v238 offset:16000
	ds_read_b128 v[145:148], v238 offset:24000
	ds_read_b128 v[149:152], v238 offset:25600
	ds_read_b128 v[153:156], v238 offset:33600
	ds_read_b128 v[157:160], v238 offset:35200
	ds_read_b128 v[161:164], v238 offset:43200
	ds_read_b128 v[165:168], v238 offset:44800
	ds_read_b128 v[169:172], v238 offset:11200
	ds_read_b128 v[173:176], v238 offset:12800
	ds_read_b128 v[177:180], v238 offset:17600
	ds_read_b128 v[181:184], v238 offset:28800
	ds_read_b128 v[185:188], v238 offset:27200
	ds_read_b128 v[189:192], v238 offset:20800
	ds_read_b128 v[193:196], v238 offset:22400
	ds_read_b128 v[197:200], v238 offset:30400
	ds_read_b128 v[201:204], v238 offset:32000
	ds_read_b128 v[205:208], v238 offset:38400
	ds_read_b128 v[209:212], v238 offset:36800
	ds_read_b128 v[213:216], v238 offset:40000
	ds_read_b128 v[217:220], v238 offset:41600
	ds_read_b128 v[221:224], v238
	ds_read_b128 v[232:235], v238 offset:46400
	v_add3_u32 v110, 0, v113, v114
	v_add_co_u32 v115, s0, s8, v115
	v_add_co_ci_u32_e64 v116, null, s9, 0, s0
	v_add_co_u32 v108, s0, 0x1000, v115
	v_add_co_ci_u32_e64 v109, s0, 0, v116, s0
	s_waitcnt vmcnt(26) lgkmcnt(27)
	v_mul_f64 v[113:114], v[119:120], v[6:7]
	s_waitcnt vmcnt(25) lgkmcnt(24)
	v_mul_f64 v[225:226], v[131:132], v[2:3]
	v_mul_f64 v[229:230], v[129:130], v[2:3]
	s_waitcnt vmcnt(24) lgkmcnt(22)
	v_mul_f64 v[236:237], v[139:140], v[18:19]
	v_mul_f64 v[18:19], v[137:138], v[18:19]
	s_waitcnt vmcnt(23)
	v_mul_f64 v[239:240], v[123:124], v[14:15]
	v_mul_f64 v[14:15], v[121:122], v[14:15]
	s_waitcnt vmcnt(22) lgkmcnt(11)
	v_mul_f64 v[243:244], v[183:184], v[74:75]
	v_mul_f64 v[74:75], v[181:182], v[74:75]
	;; [unrolled: 1-line block ×3, first 2 shown]
	s_waitcnt vmcnt(18)
	v_mul_f64 v[241:242], v[147:148], v[10:11]
	v_mul_f64 v[10:11], v[145:146], v[10:11]
	v_fma_f64 v[113:114], v[117:118], v[4:5], -v[113:114]
	v_fma_f64 v[129:130], v[129:130], v[0:1], -v[225:226]
	v_fma_f64 v[0:1], v[131:132], v[0:1], v[229:230]
	v_mul_f64 v[131:132], v[155:156], v[70:71]
	v_mul_f64 v[70:71], v[153:154], v[70:71]
	s_waitcnt lgkmcnt(5)
	v_mul_f64 v[225:226], v[207:208], v[66:67]
	v_fma_f64 v[137:138], v[137:138], v[16:17], -v[236:237]
	v_fma_f64 v[16:17], v[139:140], v[16:17], v[18:19]
	v_mul_f64 v[18:19], v[205:206], v[66:67]
	v_mul_f64 v[66:67], v[163:164], v[62:63]
	;; [unrolled: 1-line block ×3, first 2 shown]
	s_waitcnt vmcnt(17)
	v_mul_f64 v[139:140], v[127:128], v[54:55]
	v_fma_f64 v[121:122], v[121:122], v[12:13], -v[239:240]
	v_fma_f64 v[12:13], v[123:124], v[12:13], v[14:15]
	v_mul_f64 v[14:15], v[125:126], v[54:55]
	s_waitcnt vmcnt(16)
	v_mul_f64 v[54:55], v[171:172], v[50:51]
	v_mul_f64 v[50:51], v[169:170], v[50:51]
	s_waitcnt vmcnt(15)
	v_mul_f64 v[123:124], v[143:144], v[46:47]
	v_fma_f64 v[145:146], v[145:146], v[8:9], -v[241:242]
	v_fma_f64 v[8:9], v[147:148], v[8:9], v[10:11]
	v_mul_f64 v[10:11], v[141:142], v[46:47]
	s_waitcnt vmcnt(14)
	v_mul_f64 v[46:47], v[191:192], v[22:23]
	v_mul_f64 v[22:23], v[189:190], v[22:23]
	;; [unrolled: 8-line block ×3, first 2 shown]
	s_waitcnt vmcnt(11)
	v_mul_f64 v[183:184], v[159:160], v[38:39]
	v_fma_f64 v[131:132], v[153:154], v[68:69], -v[131:132]
	v_fma_f64 v[68:69], v[155:156], v[68:69], v[70:71]
	v_mul_f64 v[38:39], v[157:158], v[38:39]
	s_waitcnt vmcnt(10) lgkmcnt(3)
	v_mul_f64 v[70:71], v[215:216], v[26:27]
	v_mul_f64 v[26:27], v[213:214], v[26:27]
	s_waitcnt vmcnt(9)
	v_mul_f64 v[153:154], v[167:168], v[34:35]
	v_fma_f64 v[155:156], v[205:206], v[64:65], -v[225:226]
	v_fma_f64 v[18:19], v[207:208], v[64:65], v[18:19]
	v_mul_f64 v[34:35], v[165:166], v[34:35]
	s_waitcnt vmcnt(8)
	v_mul_f64 v[64:65], v[135:136], v[58:59]
	v_mul_f64 v[58:59], v[133:134], v[58:59]
	s_waitcnt vmcnt(7)
	v_mul_f64 v[205:206], v[175:176], v[78:79]
	v_fma_f64 v[66:67], v[161:162], v[60:61], -v[66:67]
	v_fma_f64 v[60:61], v[163:164], v[60:61], v[62:63]
	v_mul_f64 v[62:63], v[173:174], v[78:79]
	s_waitcnt vmcnt(6)
	;; [unrolled: 8-line block ×3, first 2 shown]
	v_mul_f64 v[86:87], v[187:188], v[90:91]
	s_waitcnt vmcnt(3)
	v_mul_f64 v[127:128], v[203:204], v[94:95]
	v_fma_f64 v[54:55], v[169:170], v[48:49], -v[54:55]
	v_fma_f64 v[48:49], v[171:172], v[48:49], v[50:51]
	v_mul_f64 v[50:51], v[201:202], v[94:95]
	s_waitcnt vmcnt(1) lgkmcnt(2)
	v_mul_f64 v[139:140], v[219:220], v[102:103]
	v_mul_f64 v[90:91], v[185:186], v[90:91]
	;; [unrolled: 1-line block ×3, first 2 shown]
	v_fma_f64 v[123:124], v[141:142], v[44:45], -v[123:124]
	v_fma_f64 v[10:11], v[143:144], v[44:45], v[10:11]
	v_mul_f64 v[44:45], v[217:218], v[102:103]
	s_waitcnt vmcnt(0) lgkmcnt(0)
	v_mul_f64 v[102:103], v[234:235], v[106:107]
	v_mul_f64 v[106:107], v[232:233], v[106:107]
	v_fma_f64 v[46:47], v[189:190], v[20:21], -v[46:47]
	v_fma_f64 v[20:21], v[191:192], v[20:21], v[22:23]
	v_fma_f64 v[22:23], v[149:150], v[40:41], -v[147:148]
	v_fma_f64 v[40:41], v[151:152], v[40:41], v[42:43]
	;; [unrolled: 2-line block ×10, first 2 shown]
	v_fma_f64 v[76:77], v[185:186], v[88:89], -v[86:87]
	v_fma_f64 v[80:81], v[201:202], v[92:93], -v[127:128]
	v_fma_f64 v[50:51], v[203:204], v[92:93], v[50:51]
	v_fma_f64 v[86:87], v[217:218], v[100:101], -v[139:140]
	v_fma_f64 v[6:7], v[119:120], v[4:5], v[6:7]
	v_mul_f64 v[98:99], v[209:210], v[98:99]
	v_fma_f64 v[78:79], v[187:188], v[88:89], v[90:91]
	v_fma_f64 v[82:83], v[209:210], v[96:97], -v[94:95]
	v_fma_f64 v[44:45], v[219:220], v[100:101], v[44:45]
	v_fma_f64 v[88:89], v[232:233], v[104:105], -v[102:103]
	v_fma_f64 v[90:91], v[234:235], v[104:105], v[106:107]
	v_add_f64 v[104:105], v[12:13], v[72:73]
	v_add_f64 v[106:107], v[0:1], v[18:19]
	;; [unrolled: 1-line block ×6, first 2 shown]
	ds_read_b128 v[2:5], v238 offset:1600
	ds_read_b128 v[117:120], v238 offset:3200
	v_add_f64 v[94:95], v[223:224], v[0:1]
	v_add_f64 v[100:101], v[121:122], v[181:182]
	;; [unrolled: 1-line block ×3, first 2 shown]
	v_add_f64 v[127:128], v[129:130], -v[121:122]
	v_add_f64 v[133:134], v[155:156], -v[181:182]
	v_add_f64 v[199:200], v[74:75], v[80:81]
	v_add_f64 v[203:204], v[52:53], v[50:51]
	;; [unrolled: 1-line block ×4, first 2 shown]
	v_fma_f64 v[84:85], v[211:212], v[96:97], v[98:99]
	v_add_f64 v[96:97], v[113:114], v[137:138]
	v_add_f64 v[98:99], v[6:7], v[16:17]
	v_add_f64 v[191:192], v[8:9], -v[16:17]
	v_add_f64 v[193:194], v[68:69], -v[60:61]
	v_add_f64 v[205:206], v[62:63], v[44:45]
	v_add_f64 v[229:230], v[10:11], -v[40:41]
	v_add_f64 v[231:232], v[32:33], -v[36:37]
	v_fma_f64 v[104:105], v[104:105], -0.5, v[223:224]
	s_waitcnt lgkmcnt(1)
	v_add_f64 v[195:196], v[2:3], v[54:55]
	v_add_f64 v[197:198], v[4:5], v[48:49]
	s_waitcnt lgkmcnt(0)
	v_add_f64 v[207:208], v[117:118], v[58:59]
	v_fma_f64 v[106:107], v[106:107], -0.5, v[223:224]
	v_add_f64 v[223:224], v[62:63], -v[52:53]
	v_fma_f64 v[171:172], v[171:172], -0.5, v[2:3]
	v_fma_f64 v[2:3], v[173:174], -0.5, v[2:3]
	;; [unrolled: 1-line block ×4, first 2 shown]
	v_add_f64 v[175:176], v[44:45], -v[50:51]
	v_add_f64 v[177:178], v[64:65], -v[76:77]
	v_fma_f64 v[199:200], v[199:200], -0.5, v[117:118]
	v_fma_f64 v[117:118], v[201:202], -0.5, v[117:118]
	;; [unrolled: 1-line block ×3, first 2 shown]
	v_add_f64 v[203:204], v[88:89], -v[82:83]
	v_add_f64 v[135:136], v[0:1], -v[12:13]
	;; [unrolled: 1-line block ×7, first 2 shown]
	v_add_f64 v[151:152], v[145:146], v[131:132]
	v_add_f64 v[153:154], v[8:9], v[68:69]
	v_add_f64 v[157:158], v[137:138], -v[66:67]
	v_add_f64 v[183:184], v[16:17], -v[60:61]
	;; [unrolled: 1-line block ×3, first 2 shown]
	v_add_f64 v[137:138], v[137:138], v[66:67]
	v_add_f64 v[16:17], v[16:17], v[60:61]
	v_add_f64 v[215:216], v[48:49], -v[20:21]
	v_add_f64 v[217:218], v[24:25], -v[28:29]
	;; [unrolled: 1-line block ×13, first 2 shown]
	v_fma_f64 v[100:101], v[100:101], -0.5, v[221:222]
	v_fma_f64 v[102:103], v[102:103], -0.5, v[221:222]
	v_add_f64 v[221:222], v[86:87], -v[80:81]
	v_add_f64 v[12:13], v[94:95], v[12:13]
	v_add_f64 v[94:95], v[74:75], -v[58:59]
	v_add_f64 v[96:97], v[96:97], v[145:146]
	;; [unrolled: 2-line block ×4, first 2 shown]
	v_add_f64 v[133:134], v[50:51], -v[44:45]
	v_add_f64 v[165:166], v[129:130], -v[155:156]
	;; [unrolled: 1-line block ×6, first 2 shown]
	v_add_f64 v[209:210], v[119:120], v[62:63]
	v_add_f64 v[211:212], v[54:55], -v[46:47]
	v_add_f64 v[213:214], v[38:39], -v[42:43]
	;; [unrolled: 1-line block ×8, first 2 shown]
	v_fma_f64 v[119:120], v[205:206], -0.5, v[119:120]
	v_add_f64 v[205:206], v[70:71], -v[78:79]
	v_add_f64 v[92:93], v[92:93], v[121:122]
	v_add_f64 v[121:122], v[90:91], -v[84:85]
	v_add_f64 v[191:192], v[191:192], v[193:194]
	v_add_f64 v[193:194], v[125:126], v[123:124]
	;; [unrolled: 1-line block ×9, first 2 shown]
	v_add_f64 v[139:140], v[76:77], -v[64:65]
	v_add_f64 v[141:142], v[141:142], v[143:144]
	v_add_f64 v[143:144], v[82:83], -v[88:89]
	v_add_f64 v[147:148], v[147:148], v[149:150]
	v_add_f64 v[149:150], v[78:79], -v[70:71]
	v_fma_f64 v[153:154], v[153:154], -0.5, v[6:7]
	v_fma_f64 v[6:7], v[16:17], -0.5, v[6:7]
	v_add_f64 v[16:17], v[84:85], -v[90:91]
	v_fma_f64 v[151:152], v[151:152], -0.5, v[113:114]
	v_fma_f64 v[113:114], v[137:138], -0.5, v[113:114]
	v_add_f64 v[137:138], v[22:23], v[30:31]
	v_add_f64 v[215:216], v[215:216], v[217:218]
	;; [unrolled: 1-line block ×16, first 2 shown]
	v_add_f64 v[169:170], v[46:47], -v[42:43]
	v_add_f64 v[179:180], v[0:1], v[179:180]
	v_add_f64 v[0:1], v[20:21], -v[28:29]
	v_add_f64 v[211:212], v[211:212], v[213:214]
	;; [unrolled: 2-line block ×8, first 2 shown]
	v_add_f64 v[22:23], v[193:194], v[22:23]
	v_add_f64 v[40:41], v[231:232], v[40:41]
	;; [unrolled: 1-line block ×6, first 2 shown]
	v_add_f64 v[123:124], v[123:124], -v[26:27]
	v_add_f64 v[10:11], v[10:11], -v[32:33]
	v_add_f64 v[139:140], v[139:140], v[143:144]
	v_add_f64 v[143:144], v[149:150], v[16:17]
	v_fma_f64 v[16:17], v[137:138], -0.5, v[125:126]
	v_fma_f64 v[137:138], v[217:218], -0.5, v[14:15]
	;; [unrolled: 1-line block ×4, first 2 shown]
	v_add_f64 v[48:49], v[48:49], -v[24:25]
	v_add_f64 v[54:55], v[54:55], -v[38:39]
	;; [unrolled: 1-line block ×4, first 2 shown]
	v_fma_f64 v[149:150], v[249:250], -0.5, v[34:35]
	v_fma_f64 v[34:35], v[251:252], -0.5, v[34:35]
	;; [unrolled: 1-line block ×4, first 2 shown]
	v_add_f64 v[92:93], v[92:93], v[181:182]
	v_add_f64 v[12:13], v[12:13], v[72:73]
	;; [unrolled: 1-line block ×12, first 2 shown]
	v_fma_f64 v[50:51], v[163:164], s[12:13], v[102:103]
	v_fma_f64 v[52:53], v[163:164], s[4:5], v[102:103]
	;; [unrolled: 1-line block ×29, first 2 shown]
	v_add_f64 v[58:59], v[58:59], -v[86:87]
	v_add_f64 v[62:63], v[62:63], -v[44:45]
	v_fma_f64 v[151:152], v[48:49], s[12:13], v[171:172]
	v_fma_f64 v[171:172], v[54:55], s[12:13], v[173:174]
	;; [unrolled: 1-line block ×14, first 2 shown]
	v_add_f64 v[92:93], v[92:93], v[155:156]
	v_add_f64 v[12:13], v[12:13], v[18:19]
	;; [unrolled: 1-line block ×4, first 2 shown]
	v_fma_f64 v[60:61], v[165:166], s[10:11], v[76:77]
	v_fma_f64 v[76:77], v[183:184], s[10:11], v[96:97]
	;; [unrolled: 1-line block ×10, first 2 shown]
	v_add_f64 v[20:21], v[20:21], v[24:25]
	v_add_f64 v[22:23], v[22:23], v[26:27]
	;; [unrolled: 1-line block ×6, first 2 shown]
	v_fma_f64 v[36:37], v[48:49], s[6:7], v[131:132]
	v_fma_f64 v[88:89], v[235:236], s[6:7], v[187:188]
	;; [unrolled: 1-line block ×4, first 2 shown]
	v_add_f64 v[38:39], v[42:43], v[38:39]
	v_add_f64 v[32:33], v[46:47], v[90:91]
	v_fma_f64 v[42:43], v[54:55], s[10:11], v[153:154]
	v_fma_f64 v[44:45], v[54:55], s[6:7], v[4:5]
	;; [unrolled: 1-line block ×32, first 2 shown]
	v_add_f64 v[0:1], v[92:93], v[18:19]
	v_add_f64 v[4:5], v[92:93], -v[18:19]
	v_fma_f64 v[92:93], v[147:148], s[14:15], v[102:103]
	v_fma_f64 v[96:97], v[141:142], s[14:15], v[96:97]
	;; [unrolled: 1-line block ×8, first 2 shown]
	v_add_f64 v[2:3], v[12:13], v[8:9]
	v_add_f64 v[10:11], v[20:21], v[24:25]
	v_add_f64 v[14:15], v[20:21], -v[24:25]
	v_add_f64 v[16:17], v[26:27], v[30:31]
	v_add_f64 v[20:21], v[26:27], -v[30:31]
	v_fma_f64 v[24:25], v[229:230], s[14:15], v[131:132]
	v_fma_f64 v[26:27], v[219:220], s[14:15], v[88:89]
	v_add_f64 v[6:7], v[12:13], -v[8:9]
	v_add_f64 v[8:9], v[38:39], v[22:23]
	v_add_f64 v[12:13], v[38:39], -v[22:23]
	v_add_f64 v[18:19], v[28:29], v[32:33]
	v_add_f64 v[22:23], v[28:29], -v[32:33]
	v_fma_f64 v[28:29], v[247:248], s[14:15], v[54:55]
	v_fma_f64 v[30:31], v[243:244], s[14:15], v[46:47]
	;; [unrolled: 1-line block ×33, first 2 shown]
	v_mul_f64 v[62:63], v[92:93], s[6:7]
	v_mul_f64 v[64:65], v[96:97], s[10:11]
	v_fma_f64 v[119:120], v[94:95], s[14:15], v[137:138]
	v_mul_f64 v[70:71], v[78:79], s[4:5]
	v_mul_f64 v[94:95], v[72:73], s[12:13]
	v_fma_f64 v[117:118], v[98:99], s[14:15], v[117:118]
	v_mul_f64 v[98:99], v[76:77], s[14:15]
	v_mul_f64 v[121:122], v[84:85], s[14:15]
	;; [unrolled: 1-line block ×4, first 2 shown]
	s_barrier
	buffer_gl0_inv
	ds_write_b128 v112, v[0:3]
	ds_write_b128 v112, v[4:7] offset:2400
	v_mul_f64 v[0:1], v[24:25], s[6:7]
	v_mul_f64 v[2:3], v[26:27], s[10:11]
	v_mul_f64 v[4:5], v[28:29], s[4:5]
	v_mul_f64 v[6:7], v[30:31], s[12:13]
	v_mul_f64 v[143:144], v[32:33], s[14:15]
	v_mul_f64 v[145:146], v[36:37], s[14:15]
	v_mul_f64 v[147:148], v[38:39], s[16:17]
	v_mul_f64 v[149:150], v[40:41], s[16:17]
	v_fma_f64 v[80:81], v[135:136], s[14:15], v[80:81]
	v_fma_f64 v[82:83], v[135:136], s[14:15], v[82:83]
	;; [unrolled: 1-line block ×5, first 2 shown]
	v_mul_f64 v[151:152], v[42:43], s[6:7]
	v_mul_f64 v[153:154], v[44:45], s[10:11]
	v_fma_f64 v[90:91], v[215:216], s[14:15], v[125:126]
	v_fma_f64 v[125:126], v[175:176], s[14:15], v[155:156]
	;; [unrolled: 1-line block ×3, first 2 shown]
	v_mul_f64 v[155:156], v[46:47], s[4:5]
	v_mul_f64 v[157:158], v[48:49], s[12:13]
	;; [unrolled: 1-line block ×6, first 2 shown]
	v_fma_f64 v[62:63], v[96:97], s[16:17], v[62:63]
	v_fma_f64 v[64:65], v[92:93], s[16:17], v[64:65]
	;; [unrolled: 1-line block ×6, first 2 shown]
	v_fma_f64 v[78:79], v[84:85], s[4:5], -v[98:99]
	v_fma_f64 v[76:77], v[76:77], s[12:13], -v[121:122]
	v_fma_f64 v[84:85], v[102:103], s[6:7], -v[139:140]
	v_fma_f64 v[92:93], v[100:101], s[10:11], -v[141:142]
	v_fma_f64 v[94:95], v[26:27], s[16:17], v[0:1]
	v_fma_f64 v[96:97], v[24:25], s[16:17], v[2:3]
	;; [unrolled: 1-line block ×4, first 2 shown]
	v_fma_f64 v[102:103], v[36:37], s[4:5], -v[143:144]
	v_fma_f64 v[121:122], v[32:33], s[12:13], -v[145:146]
	;; [unrolled: 1-line block ×4, first 2 shown]
	v_fma_f64 v[143:144], v[44:45], s[16:17], v[151:152]
	v_fma_f64 v[145:146], v[42:43], s[16:17], v[153:154]
	;; [unrolled: 1-line block ×4, first 2 shown]
	v_fma_f64 v[151:152], v[54:55], s[4:5], -v[159:160]
	v_fma_f64 v[153:154], v[34:35], s[12:13], -v[161:162]
	;; [unrolled: 1-line block ×4, first 2 shown]
	v_add_f64 v[0:1], v[68:69], v[62:63]
	v_add_f64 v[2:3], v[80:81], v[64:65]
	;; [unrolled: 1-line block ×8, first 2 shown]
	v_add_f64 v[4:5], v[68:69], -v[62:63]
	v_add_f64 v[6:7], v[80:81], -v[64:65]
	;; [unrolled: 1-line block ×8, first 2 shown]
	v_add_f64 v[48:49], v[88:89], v[94:95]
	v_add_f64 v[50:51], v[104:105], v[96:97]
	;; [unrolled: 1-line block ×8, first 2 shown]
	v_add_f64 v[52:53], v[88:89], -v[94:95]
	v_add_f64 v[54:55], v[104:105], -v[96:97]
	;; [unrolled: 1-line block ×8, first 2 shown]
	v_add_f64 v[80:81], v[113:114], v[143:144]
	v_add_f64 v[82:83], v[125:126], v[145:146]
	;; [unrolled: 1-line block ×6, first 2 shown]
	v_add_f64 v[84:85], v[113:114], -v[143:144]
	v_add_f64 v[86:87], v[125:126], -v[145:146]
	;; [unrolled: 1-line block ×6, first 2 shown]
	v_add_f64 v[104:105], v[135:136], v[155:156]
	v_add_f64 v[106:107], v[137:138], v[157:158]
	v_add_f64 v[117:118], v[135:136], -v[155:156]
	v_add_f64 v[119:120], v[137:138], -v[157:158]
	ds_write_b128 v112, v[0:3] offset:480
	ds_write_b128 v112, v[24:27] offset:960
	;; [unrolled: 1-line block ×8, first 2 shown]
	ds_write_b128 v111, v[8:11]
	ds_write_b128 v111, v[48:51] offset:480
	ds_write_b128 v111, v[56:59] offset:960
	;; [unrolled: 1-line block ×9, first 2 shown]
	ds_write_b128 v110, v[16:19]
	ds_write_b128 v110, v[80:83] offset:480
	ds_write_b128 v110, v[88:91] offset:960
	;; [unrolled: 1-line block ×9, first 2 shown]
	v_add_co_u32 v12, s0, 0x1220, v115
	v_add_co_ci_u32_e64 v13, s0, 0, v116, s0
	s_waitcnt lgkmcnt(0)
	s_barrier
	buffer_gl0_inv
	s_clause 0x2
	global_load_dwordx4 v[0:3], v[108:109], off offset:544
	global_load_dwordx4 v[8:11], v[12:13], off offset:16
	global_load_dwordx4 v[4:7], v[12:13], off offset:32
	v_add_co_u32 v28, s0, 0x1260, v115
	v_add_co_ci_u32_e64 v29, s0, 0, v116, s0
	v_add_co_u32 v64, s0, 0x4800, v115
	v_add_co_ci_u32_e64 v65, s0, 0, v116, s0
	;; [unrolled: 2-line block ×3, first 2 shown]
	s_clause 0x9
	global_load_dwordx4 v[24:27], v[12:13], off offset:48
	global_load_dwordx4 v[20:23], v[108:109], off offset:608
	;; [unrolled: 1-line block ×10, first 2 shown]
	v_add_co_u32 v66, s0, 0x4aa0, v115
	v_add_co_ci_u32_e64 v67, s0, 0, v116, s0
	v_add_co_u32 v100, s0, 0x8000, v115
	v_add_co_ci_u32_e64 v101, s0, 0, v116, s0
	;; [unrolled: 2-line block ×4, first 2 shown]
	s_clause 0xd
	global_load_dwordx4 v[52:55], v[64:65], off offset:672
	global_load_dwordx4 v[56:59], v[66:67], off offset:16
	;; [unrolled: 1-line block ×14, first 2 shown]
	ds_read_b128 v[148:151], v238 offset:4800
	ds_read_b128 v[120:123], v238 offset:6400
	;; [unrolled: 1-line block ×27, first 2 shown]
	ds_read_b128 v[140:143], v238
	ds_read_b128 v[224:227], v238 offset:1600
	ds_read_b128 v[220:223], v238 offset:3200
	s_waitcnt vmcnt(0) lgkmcnt(0)
	s_barrier
	buffer_gl0_inv
	v_mul_f64 v[232:233], v[150:151], v[2:3]
	v_mul_f64 v[2:3], v[148:149], v[2:3]
	;; [unrolled: 1-line block ×10, first 2 shown]
	v_fma_f64 v[148:149], v[148:149], v[0:1], -v[232:233]
	v_fma_f64 v[0:1], v[150:151], v[0:1], v[2:3]
	v_mul_f64 v[2:3], v[182:183], v[14:15]
	v_mul_f64 v[14:15], v[180:181], v[14:15]
	v_mul_f64 v[150:151], v[194:195], v[18:19]
	v_mul_f64 v[18:19], v[192:193], v[18:19]
	v_fma_f64 v[176:177], v[176:177], v[8:9], -v[234:235]
	v_fma_f64 v[8:9], v[178:179], v[8:9], v[10:11]
	v_mul_f64 v[10:11], v[218:219], v[42:43]
	v_mul_f64 v[42:43], v[216:217], v[42:43]
	v_mul_f64 v[178:179], v[190:191], v[38:39]
	v_mul_f64 v[38:39], v[188:189], v[38:39]
	;; [unrolled: 6-line block ×8, first 2 shown]
	v_fma_f64 v[178:179], v[188:189], v[36:37], -v[178:179]
	v_fma_f64 v[36:37], v[190:191], v[36:37], v[38:39]
	v_mul_f64 v[38:39], v[166:167], v[90:91]
	v_mul_f64 v[90:91], v[164:165], v[90:91]
	v_fma_f64 v[6:7], v[120:121], v[32:33], -v[6:7]
	v_fma_f64 v[32:33], v[122:123], v[32:33], v[34:35]
	v_mul_f64 v[34:35], v[170:171], v[86:87]
	v_mul_f64 v[86:87], v[168:169], v[86:87]
	;; [unrolled: 1-line block ×4, first 2 shown]
	v_fma_f64 v[174:175], v[200:201], v[28:29], -v[174:175]
	v_fma_f64 v[28:29], v[202:203], v[28:29], v[30:31]
	v_mul_f64 v[30:31], v[132:133], v[98:99]
	v_mul_f64 v[98:99], v[184:185], v[106:107]
	;; [unrolled: 1-line block ×6, first 2 shown]
	v_fma_f64 v[26:27], v[116:117], v[44:45], -v[26:27]
	v_fma_f64 v[44:45], v[118:119], v[44:45], v[46:47]
	v_fma_f64 v[46:47], v[204:205], v[48:49], -v[158:159]
	v_fma_f64 v[48:49], v[206:207], v[48:49], v[50:51]
	v_fma_f64 v[22:23], v[128:129], v[52:53], -v[22:23]
	v_fma_f64 v[50:51], v[130:131], v[52:53], v[54:55]
	v_fma_f64 v[52:53], v[208:209], v[56:57], -v[162:163]
	v_fma_f64 v[54:55], v[210:211], v[56:57], v[58:59]
	v_fma_f64 v[14:15], v[136:137], v[60:61], -v[14:15]
	v_fma_f64 v[56:57], v[138:139], v[60:61], v[62:63]
	v_fma_f64 v[58:59], v[212:213], v[68:69], -v[180:181]
	v_fma_f64 v[60:61], v[214:215], v[68:69], v[70:71]
	v_fma_f64 v[18:19], v[144:145], v[64:65], -v[18:19]
	v_fma_f64 v[62:63], v[146:147], v[64:65], v[66:67]
	v_fma_f64 v[64:65], v[108:109], v[72:73], -v[182:183]
	v_fma_f64 v[66:67], v[110:111], v[72:73], v[74:75]
	v_fma_f64 v[42:43], v[152:153], v[76:77], -v[42:43]
	v_fma_f64 v[68:69], v[154:155], v[76:77], v[78:79]
	v_fma_f64 v[70:71], v[112:113], v[80:81], -v[192:193]
	v_fma_f64 v[72:73], v[114:115], v[80:81], v[82:83]
	v_fma_f64 v[38:39], v[164:165], v[88:89], -v[38:39]
	v_fma_f64 v[74:75], v[166:167], v[88:89], v[90:91]
	v_fma_f64 v[34:35], v[168:169], v[84:85], -v[34:35]
	v_fma_f64 v[80:81], v[184:185], v[104:105], -v[122:123]
	v_fma_f64 v[82:83], v[170:171], v[84:85], v[86:87]
	v_fma_f64 v[84:85], v[186:187], v[104:105], v[98:99]
	v_fma_f64 v[76:77], v[124:125], v[92:93], -v[188:189]
	v_fma_f64 v[78:79], v[126:127], v[92:93], v[94:95]
	v_fma_f64 v[86:87], v[132:133], v[96:97], -v[120:121]
	;; [unrolled: 2-line block ×3, first 2 shown]
	v_fma_f64 v[90:91], v[198:199], v[100:101], v[102:103]
	v_add_f64 v[92:93], v[156:157], v[2:3]
	v_add_f64 v[94:95], v[176:177], v[10:11]
	;; [unrolled: 1-line block ×7, first 2 shown]
	v_add_f64 v[128:129], v[176:177], -v[156:157]
	v_add_f64 v[130:131], v[10:11], -v[2:3]
	;; [unrolled: 1-line block ×5, first 2 shown]
	v_add_f64 v[120:121], v[38:39], v[34:35]
	v_add_f64 v[122:123], v[42:43], v[80:81]
	v_add_f64 v[124:125], v[74:75], v[82:83]
	v_add_f64 v[126:127], v[68:69], v[84:85]
	v_add_f64 v[154:155], v[2:3], -v[10:11]
	v_add_f64 v[188:189], v[26:27], -v[22:23]
	;; [unrolled: 1-line block ×23, first 2 shown]
	v_add_f64 v[102:103], v[142:143], v[8:9]
	v_fma_f64 v[92:93], v[92:93], -0.5, v[140:141]
	v_fma_f64 v[94:95], v[94:95], -0.5, v[140:141]
	;; [unrolled: 1-line block ×4, first 2 shown]
	v_add_f64 v[140:141], v[78:79], -v[72:73]
	v_add_f64 v[142:143], v[30:31], -v[90:91]
	v_add_f64 v[108:109], v[48:49], v[54:55]
	v_add_f64 v[110:111], v[28:29], v[60:61]
	;; [unrolled: 1-line block ×6, first 2 shown]
	v_add_f64 v[158:159], v[24:25], -v[8:9]
	v_add_f64 v[162:163], v[12:13], -v[40:41]
	;; [unrolled: 1-line block ×16, first 2 shown]
	v_fma_f64 v[104:105], v[104:105], -0.5, v[224:225]
	v_fma_f64 v[106:107], v[106:107], -0.5, v[224:225]
	v_add_f64 v[224:225], v[156:157], -v[2:3]
	v_fma_f64 v[120:121], v[120:121], -0.5, v[220:221]
	v_fma_f64 v[122:123], v[122:123], -0.5, v[220:221]
	v_fma_f64 v[124:125], v[124:125], -0.5, v[222:223]
	v_fma_f64 v[126:127], v[126:127], -0.5, v[222:223]
	v_add_f64 v[220:221], v[160:161], v[150:151]
	v_add_f64 v[222:223], v[172:173], v[178:179]
	;; [unrolled: 1-line block ×16, first 2 shown]
	v_add_f64 v[132:133], v[8:9], -v[24:25]
	v_add_f64 v[134:135], v[40:41], -v[12:13]
	v_add_f64 v[144:145], v[144:145], v[146:147]
	v_add_f64 v[146:147], v[4:5], v[36:37]
	;; [unrolled: 1-line block ×18, first 2 shown]
	v_fma_f64 v[108:109], v[108:109], -0.5, v[226:227]
	v_fma_f64 v[110:111], v[110:111], -0.5, v[226:227]
	v_add_f64 v[226:227], v[24:25], -v[12:13]
	v_add_f64 v[158:159], v[158:159], v[162:163]
	v_add_f64 v[162:163], v[20:21], -v[16:17]
	v_add_f64 v[164:165], v[164:165], v[166:167]
	;; [unrolled: 2-line block ×9, first 2 shown]
	v_add_f64 v[102:103], v[78:79], -v[30:31]
	v_add_f64 v[176:177], v[176:177], -v[10:11]
	;; [unrolled: 1-line block ×4, first 2 shown]
	v_fma_f64 v[220:221], v[220:221], -0.5, v[148:149]
	v_fma_f64 v[148:149], v[222:223], -0.5, v[148:149]
	v_add_f64 v[130:131], v[130:131], v[160:161]
	v_add_f64 v[20:21], v[154:155], v[20:21]
	;; [unrolled: 1-line block ×10, first 2 shown]
	v_fma_f64 v[112:113], v[138:139], -0.5, v[0:1]
	v_add_f64 v[132:133], v[132:133], v[134:135]
	v_add_f64 v[134:135], v[160:161], -v[150:151]
	v_add_f64 v[8:9], v[8:9], -v[40:41]
	v_fma_f64 v[0:1], v[146:147], -0.5, v[0:1]
	v_add_f64 v[174:175], v[174:175], -v[58:59]
	v_add_f64 v[26:27], v[26:27], -v[18:19]
	v_add_f64 v[44:45], v[44:45], -v[62:63]
	v_fma_f64 v[114:115], v[182:183], -0.5, v[6:7]
	v_fma_f64 v[116:117], v[198:199], -0.5, v[32:33]
	;; [unrolled: 1-line block ×4, first 2 shown]
	v_add_f64 v[28:29], v[28:29], -v[60:61]
	v_add_f64 v[70:71], v[70:71], -v[88:89]
	;; [unrolled: 1-line block ×3, first 2 shown]
	v_fma_f64 v[118:119], v[231:232], -0.5, v[64:65]
	v_fma_f64 v[64:65], v[235:236], -0.5, v[64:65]
	;; [unrolled: 1-line block ×4, first 2 shown]
	v_add_f64 v[68:69], v[68:69], -v[84:85]
	v_add_f64 v[2:3], v[100:101], v[2:3]
	v_add_f64 v[12:13], v[24:25], v[12:13]
	;; [unrolled: 1-line block ×12, first 2 shown]
	v_fma_f64 v[50:51], v[226:227], s[12:13], v[94:95]
	v_fma_f64 v[52:53], v[226:227], s[4:5], v[94:95]
	;; [unrolled: 1-line block ×31, first 2 shown]
	v_add_f64 v[42:43], v[42:43], -v[80:81]
	v_fma_f64 v[104:105], v[28:29], s[12:13], v[104:105]
	v_fma_f64 v[182:183], v[218:219], s[12:13], v[122:123]
	;; [unrolled: 1-line block ×15, first 2 shown]
	v_add_f64 v[10:11], v[2:3], v[10:11]
	v_add_f64 v[12:13], v[12:13], v[40:41]
	;; [unrolled: 1-line block ×12, first 2 shown]
	v_fma_f64 v[48:49], v[176:177], s[10:11], v[54:55]
	v_fma_f64 v[54:55], v[4:5], s[10:11], v[82:83]
	;; [unrolled: 1-line block ×45, first 2 shown]
	v_add_f64 v[0:1], v[10:11], v[24:25]
	v_add_f64 v[2:3], v[12:13], v[16:17]
	v_add_f64 v[4:5], v[10:11], -v[24:25]
	v_add_f64 v[6:7], v[12:13], -v[16:17]
	v_add_f64 v[8:9], v[20:21], v[14:15]
	v_add_f64 v[10:11], v[36:37], v[18:19]
	v_add_f64 v[12:13], v[20:21], -v[14:15]
	v_add_f64 v[14:15], v[36:37], -v[18:19]
	;; [unrolled: 4-line block ×3, first 2 shown]
	v_fma_f64 v[24:25], v[144:145], s[14:15], v[82:83]
	v_fma_f64 v[30:31], v[136:137], s[14:15], v[60:61]
	;; [unrolled: 1-line block ×35, first 2 shown]
	ds_write_b128 v238, v[0:3]
	ds_write_b128 v238, v[4:7] offset:24000
	ds_write_b128 v238, v[8:11] offset:1600
	;; [unrolled: 1-line block ×5, first 2 shown]
	v_mul_f64 v[0:1], v[24:25], s[6:7]
	v_mul_f64 v[2:3], v[30:31], s[10:11]
	;; [unrolled: 1-line block ×10, first 2 shown]
	v_fma_f64 v[88:89], v[174:175], s[10:11], v[142:143]
	v_mul_f64 v[20:21], v[82:83], s[4:5]
	v_mul_f64 v[22:23], v[84:85], s[12:13]
	;; [unrolled: 1-line block ×4, first 2 shown]
	v_fma_f64 v[118:119], v[214:215], s[6:7], v[124:125]
	v_fma_f64 v[62:63], v[132:133], s[14:15], v[80:81]
	v_fma_f64 v[80:81], v[184:185], s[14:15], v[104:105]
	v_fma_f64 v[104:105], v[212:213], s[14:15], v[126:127]
	v_mul_f64 v[124:125], v[44:45], s[16:17]
	v_mul_f64 v[126:127], v[98:99], s[16:17]
	v_fma_f64 v[96:97], v[184:185], s[14:15], v[106:107]
	v_fma_f64 v[106:107], v[216:217], s[14:15], v[130:131]
	v_mul_f64 v[128:129], v[72:73], s[6:7]
	v_mul_f64 v[130:131], v[100:101], s[10:11]
	;; [unrolled: 1-line block ×8, first 2 shown]
	v_fma_f64 v[30:31], v[30:31], s[16:17], v[0:1]
	v_fma_f64 v[24:25], v[24:25], s[16:17], v[2:3]
	;; [unrolled: 1-line block ×8, first 2 shown]
	v_fma_f64 v[56:57], v[56:57], s[4:5], -v[8:9]
	v_fma_f64 v[54:55], v[54:55], s[12:13], -v[10:11]
	;; [unrolled: 1-line block ×4, first 2 shown]
	v_fma_f64 v[144:145], v[32:33], s[16:17], v[16:17]
	v_fma_f64 v[76:77], v[76:77], s[16:17], v[18:19]
	;; [unrolled: 1-line block ×7, first 2 shown]
	v_fma_f64 v[70:71], v[26:27], s[4:5], -v[70:71]
	v_fma_f64 v[120:121], v[28:29], s[12:13], -v[120:121]
	;; [unrolled: 1-line block ×4, first 2 shown]
	v_fma_f64 v[100:101], v[100:101], s[16:17], v[128:129]
	v_fma_f64 v[72:73], v[72:73], s[16:17], v[130:131]
	;; [unrolled: 1-line block ×6, first 2 shown]
	v_fma_f64 v[126:127], v[64:65], s[4:5], -v[136:137]
	v_fma_f64 v[128:129], v[42:43], s[12:13], -v[138:139]
	v_fma_f64 v[102:103], v[212:213], s[14:15], v[102:103]
	v_fma_f64 v[118:119], v[216:217], s[14:15], v[118:119]
	v_fma_f64 v[130:131], v[68:69], s[6:7], -v[140:141]
	v_fma_f64 v[132:133], v[66:67], s[10:11], -v[142:143]
	v_add_f64 v[0:1], v[34:35], v[30:31]
	v_add_f64 v[2:3], v[36:37], v[24:25]
	;; [unrolled: 1-line block ×6, first 2 shown]
	v_add_f64 v[6:7], v[36:37], -v[24:25]
	v_add_f64 v[24:25], v[60:61], v[74:75]
	v_add_f64 v[26:27], v[62:63], v[58:59]
	v_add_f64 v[4:5], v[34:35], -v[30:31]
	v_add_f64 v[12:13], v[40:41], -v[52:53]
	;; [unrolled: 1-line block ×7, first 2 shown]
	v_add_f64 v[32:33], v[78:79], v[144:145]
	v_add_f64 v[34:35], v[80:81], v[76:77]
	;; [unrolled: 1-line block ×8, first 2 shown]
	v_add_f64 v[36:37], v[78:79], -v[144:145]
	v_add_f64 v[38:39], v[80:81], -v[76:77]
	;; [unrolled: 1-line block ×8, first 2 shown]
	v_add_f64 v[64:65], v[104:105], v[100:101]
	v_add_f64 v[66:67], v[106:107], v[72:73]
	v_add_f64 v[70:71], v[106:107], -v[72:73]
	v_add_f64 v[72:73], v[112:113], v[110:111]
	v_add_f64 v[74:75], v[114:115], v[108:109]
	;; [unrolled: 1-line block ×6, first 2 shown]
	v_add_f64 v[68:69], v[104:105], -v[100:101]
	v_add_f64 v[76:77], v[112:113], -v[110:111]
	;; [unrolled: 1-line block ×7, first 2 shown]
	ds_write_b128 v238, v[0:3] offset:4800
	ds_write_b128 v238, v[8:11] offset:9600
	;; [unrolled: 1-line block ×24, first 2 shown]
	s_waitcnt lgkmcnt(0)
	s_barrier
	buffer_gl0_inv
	s_and_saveexec_b32 s0, vcc_lo
	s_cbranch_execz .LBB0_19
; %bb.18:
	v_lshl_add_u32 v30, v228, 4, 0
	v_mov_b32_e32 v229, 0
	v_add_nc_u32_e32 v8, 0x64, v228
	v_add_nc_u32_e32 v12, 0xc8, v228
	;; [unrolled: 1-line block ×3, first 2 shown]
	ds_read_b128 v[0:3], v30
	s_clause 0x1
	buffer_load_dword v4, off, s[24:27], 0
	buffer_load_dword v5, off, s[24:27], 0 offset:4
	v_lshlrev_b64 v[10:11], 4, v[228:229]
	v_mov_b32_e32 v9, v229
	v_mov_b32_e32 v13, v229
	v_mov_b32_e32 v15, v229
	v_add_nc_u32_e32 v26, 0x190, v228
	v_mov_b32_e32 v27, v229
	v_lshlrev_b64 v[8:9], 4, v[8:9]
	v_lshlrev_b64 v[22:23], 4, v[12:13]
	;; [unrolled: 1-line block ×3, first 2 shown]
	v_add_nc_u32_e32 v28, 0x1f4, v228
	v_lshlrev_b64 v[26:27], 4, v[26:27]
	v_mov_b32_e32 v29, v229
	s_waitcnt vmcnt(1)
	v_add_co_u32 v31, vcc_lo, s2, v4
	s_waitcnt vmcnt(0)
	v_add_co_ci_u32_e32 v32, vcc_lo, s3, v5, vcc_lo
	ds_read_b128 v[4:7], v30 offset:46400
	v_add_co_u32 v10, vcc_lo, v31, v10
	v_add_co_ci_u32_e32 v11, vcc_lo, v32, v11, vcc_lo
	v_add_co_u32 v20, vcc_lo, v31, v8
	v_add_co_ci_u32_e32 v21, vcc_lo, v32, v9, vcc_lo
	s_waitcnt lgkmcnt(1)
	global_store_dwordx4 v[10:11], v[0:3], off
	ds_read_b128 v[0:3], v30 offset:1600
	ds_read_b128 v[8:11], v30 offset:3200
	;; [unrolled: 1-line block ×4, first 2 shown]
	v_add_co_u32 v22, vcc_lo, v31, v22
	v_add_co_ci_u32_e32 v23, vcc_lo, v32, v23, vcc_lo
	v_add_co_u32 v24, vcc_lo, v31, v24
	v_add_co_ci_u32_e32 v25, vcc_lo, v32, v25, vcc_lo
	;; [unrolled: 2-line block ×3, first 2 shown]
	s_waitcnt lgkmcnt(3)
	global_store_dwordx4 v[20:21], v[0:3], off
	s_waitcnt lgkmcnt(2)
	global_store_dwordx4 v[22:23], v[8:11], off
	s_waitcnt lgkmcnt(1)
	global_store_dwordx4 v[24:25], v[12:15], off
	s_waitcnt lgkmcnt(0)
	global_store_dwordx4 v[26:27], v[16:19], off
	v_lshlrev_b64 v[0:1], 4, v[28:29]
	v_add_nc_u32_e32 v12, 0x258, v228
	v_mov_b32_e32 v13, v229
	v_add_nc_u32_e32 v14, 0x2bc, v228
	v_mov_b32_e32 v15, v229
	v_add_nc_u32_e32 v26, 0x320, v228
	v_add_co_u32 v20, vcc_lo, v31, v0
	v_add_co_ci_u32_e32 v21, vcc_lo, v32, v1, vcc_lo
	ds_read_b128 v[0:3], v30 offset:8000
	ds_read_b128 v[8:11], v30 offset:9600
	v_lshlrev_b64 v[22:23], 4, v[12:13]
	v_lshlrev_b64 v[24:25], 4, v[14:15]
	ds_read_b128 v[12:15], v30 offset:11200
	ds_read_b128 v[16:19], v30 offset:12800
	v_mov_b32_e32 v27, v229
	v_add_nc_u32_e32 v28, 0x384, v228
	v_add_co_u32 v22, vcc_lo, v31, v22
	v_lshlrev_b64 v[26:27], 4, v[26:27]
	v_add_co_ci_u32_e32 v23, vcc_lo, v32, v23, vcc_lo
	v_add_co_u32 v24, vcc_lo, v31, v24
	v_add_co_ci_u32_e32 v25, vcc_lo, v32, v25, vcc_lo
	v_add_co_u32 v26, vcc_lo, v31, v26
	v_add_co_ci_u32_e32 v27, vcc_lo, v32, v27, vcc_lo
	s_waitcnt lgkmcnt(3)
	global_store_dwordx4 v[20:21], v[0:3], off
	s_waitcnt lgkmcnt(2)
	global_store_dwordx4 v[22:23], v[8:11], off
	s_waitcnt lgkmcnt(1)
	global_store_dwordx4 v[24:25], v[12:15], off
	s_waitcnt lgkmcnt(0)
	global_store_dwordx4 v[26:27], v[16:19], off
	v_lshlrev_b64 v[0:1], 4, v[28:29]
	v_add_nc_u32_e32 v12, 0x3e8, v228
	v_mov_b32_e32 v13, v229
	v_add_nc_u32_e32 v14, 0x44c, v228
	v_mov_b32_e32 v15, v229
	v_add_nc_u32_e32 v26, 0x4b0, v228
	v_add_co_u32 v20, vcc_lo, v31, v0
	v_add_co_ci_u32_e32 v21, vcc_lo, v32, v1, vcc_lo
	ds_read_b128 v[0:3], v30 offset:14400
	ds_read_b128 v[8:11], v30 offset:16000
	v_lshlrev_b64 v[22:23], 4, v[12:13]
	v_lshlrev_b64 v[24:25], 4, v[14:15]
	ds_read_b128 v[12:15], v30 offset:17600
	ds_read_b128 v[16:19], v30 offset:19200
	v_mov_b32_e32 v27, v229
	v_add_nc_u32_e32 v28, 0x514, v228
	v_add_co_u32 v22, vcc_lo, v31, v22
	v_lshlrev_b64 v[26:27], 4, v[26:27]
	v_add_co_ci_u32_e32 v23, vcc_lo, v32, v23, vcc_lo
	v_add_co_u32 v24, vcc_lo, v31, v24
	v_add_co_ci_u32_e32 v25, vcc_lo, v32, v25, vcc_lo
	v_add_co_u32 v26, vcc_lo, v31, v26
	v_add_co_ci_u32_e32 v27, vcc_lo, v32, v27, vcc_lo
	;; [unrolled: 31-line block ×5, first 2 shown]
	s_waitcnt lgkmcnt(3)
	global_store_dwordx4 v[20:21], v[0:3], off
	s_waitcnt lgkmcnt(2)
	global_store_dwordx4 v[22:23], v[8:11], off
	;; [unrolled: 2-line block ×4, first 2 shown]
	v_lshlrev_b64 v[0:1], 4, v[28:29]
	v_add_nc_u32_e32 v12, 0xa28, v228
	v_mov_b32_e32 v13, v229
	v_add_nc_u32_e32 v14, 0xa8c, v228
	v_mov_b32_e32 v15, v229
	v_add_nc_u32_e32 v26, 0xaf0, v228
	v_add_co_u32 v20, vcc_lo, v31, v0
	v_add_co_ci_u32_e32 v21, vcc_lo, v32, v1, vcc_lo
	ds_read_b128 v[0:3], v30 offset:40000
	ds_read_b128 v[8:11], v30 offset:41600
	v_lshlrev_b64 v[22:23], 4, v[12:13]
	v_lshlrev_b64 v[24:25], 4, v[14:15]
	ds_read_b128 v[12:15], v30 offset:43200
	ds_read_b128 v[16:19], v30 offset:44800
	v_mov_b32_e32 v27, v229
	v_add_nc_u32_e32 v228, 0xb54, v228
	v_add_co_u32 v22, vcc_lo, v31, v22
	v_lshlrev_b64 v[26:27], 4, v[26:27]
	v_add_co_ci_u32_e32 v23, vcc_lo, v32, v23, vcc_lo
	v_add_co_u32 v24, vcc_lo, v31, v24
	v_lshlrev_b64 v[28:29], 4, v[228:229]
	v_add_co_ci_u32_e32 v25, vcc_lo, v32, v25, vcc_lo
	v_add_co_u32 v26, vcc_lo, v31, v26
	v_add_co_ci_u32_e32 v27, vcc_lo, v32, v27, vcc_lo
	v_add_co_u32 v28, vcc_lo, v31, v28
	v_add_co_ci_u32_e32 v29, vcc_lo, v32, v29, vcc_lo
	s_waitcnt lgkmcnt(3)
	global_store_dwordx4 v[20:21], v[0:3], off
	s_waitcnt lgkmcnt(2)
	global_store_dwordx4 v[22:23], v[8:11], off
	;; [unrolled: 2-line block ×4, first 2 shown]
	global_store_dwordx4 v[28:29], v[4:7], off
.LBB0_19:
	s_endpgm
	.section	.rodata,"a",@progbits
	.p2align	6, 0x0
	.amdhsa_kernel fft_rtc_fwd_len3000_factors_10_3_10_10_wgs_100_tpt_100_halfLds_dp_ip_CI_unitstride_sbrr_C2R_dirReg
		.amdhsa_group_segment_fixed_size 0
		.amdhsa_private_segment_fixed_size 12
		.amdhsa_kernarg_size 88
		.amdhsa_user_sgpr_count 6
		.amdhsa_user_sgpr_private_segment_buffer 1
		.amdhsa_user_sgpr_dispatch_ptr 0
		.amdhsa_user_sgpr_queue_ptr 0
		.amdhsa_user_sgpr_kernarg_segment_ptr 1
		.amdhsa_user_sgpr_dispatch_id 0
		.amdhsa_user_sgpr_flat_scratch_init 0
		.amdhsa_user_sgpr_private_segment_size 0
		.amdhsa_wavefront_size32 1
		.amdhsa_uses_dynamic_stack 0
		.amdhsa_system_sgpr_private_segment_wavefront_offset 1
		.amdhsa_system_sgpr_workgroup_id_x 1
		.amdhsa_system_sgpr_workgroup_id_y 0
		.amdhsa_system_sgpr_workgroup_id_z 0
		.amdhsa_system_sgpr_workgroup_info 0
		.amdhsa_system_vgpr_workitem_id 0
		.amdhsa_next_free_vgpr 256
		.amdhsa_next_free_sgpr 28
		.amdhsa_reserve_vcc 1
		.amdhsa_reserve_flat_scratch 0
		.amdhsa_float_round_mode_32 0
		.amdhsa_float_round_mode_16_64 0
		.amdhsa_float_denorm_mode_32 3
		.amdhsa_float_denorm_mode_16_64 3
		.amdhsa_dx10_clamp 1
		.amdhsa_ieee_mode 1
		.amdhsa_fp16_overflow 0
		.amdhsa_workgroup_processor_mode 1
		.amdhsa_memory_ordered 1
		.amdhsa_forward_progress 0
		.amdhsa_shared_vgpr_count 0
		.amdhsa_exception_fp_ieee_invalid_op 0
		.amdhsa_exception_fp_denorm_src 0
		.amdhsa_exception_fp_ieee_div_zero 0
		.amdhsa_exception_fp_ieee_overflow 0
		.amdhsa_exception_fp_ieee_underflow 0
		.amdhsa_exception_fp_ieee_inexact 0
		.amdhsa_exception_int_div_zero 0
	.end_amdhsa_kernel
	.text
.Lfunc_end0:
	.size	fft_rtc_fwd_len3000_factors_10_3_10_10_wgs_100_tpt_100_halfLds_dp_ip_CI_unitstride_sbrr_C2R_dirReg, .Lfunc_end0-fft_rtc_fwd_len3000_factors_10_3_10_10_wgs_100_tpt_100_halfLds_dp_ip_CI_unitstride_sbrr_C2R_dirReg
                                        ; -- End function
	.section	.AMDGPU.csdata,"",@progbits
; Kernel info:
; codeLenInByte = 24844
; NumSgprs: 30
; NumVgprs: 256
; ScratchSize: 12
; MemoryBound: 0
; FloatMode: 240
; IeeeMode: 1
; LDSByteSize: 0 bytes/workgroup (compile time only)
; SGPRBlocks: 3
; VGPRBlocks: 31
; NumSGPRsForWavesPerEU: 30
; NumVGPRsForWavesPerEU: 256
; Occupancy: 4
; WaveLimiterHint : 1
; COMPUTE_PGM_RSRC2:SCRATCH_EN: 1
; COMPUTE_PGM_RSRC2:USER_SGPR: 6
; COMPUTE_PGM_RSRC2:TRAP_HANDLER: 0
; COMPUTE_PGM_RSRC2:TGID_X_EN: 1
; COMPUTE_PGM_RSRC2:TGID_Y_EN: 0
; COMPUTE_PGM_RSRC2:TGID_Z_EN: 0
; COMPUTE_PGM_RSRC2:TIDIG_COMP_CNT: 0
	.text
	.p2alignl 6, 3214868480
	.fill 48, 4, 3214868480
	.type	__hip_cuid_67e45ef0123d1114,@object ; @__hip_cuid_67e45ef0123d1114
	.section	.bss,"aw",@nobits
	.globl	__hip_cuid_67e45ef0123d1114
__hip_cuid_67e45ef0123d1114:
	.byte	0                               ; 0x0
	.size	__hip_cuid_67e45ef0123d1114, 1

	.ident	"AMD clang version 19.0.0git (https://github.com/RadeonOpenCompute/llvm-project roc-6.4.0 25133 c7fe45cf4b819c5991fe208aaa96edf142730f1d)"
	.section	".note.GNU-stack","",@progbits
	.addrsig
	.addrsig_sym __hip_cuid_67e45ef0123d1114
	.amdgpu_metadata
---
amdhsa.kernels:
  - .args:
      - .actual_access:  read_only
        .address_space:  global
        .offset:         0
        .size:           8
        .value_kind:     global_buffer
      - .offset:         8
        .size:           8
        .value_kind:     by_value
      - .actual_access:  read_only
        .address_space:  global
        .offset:         16
        .size:           8
        .value_kind:     global_buffer
      - .actual_access:  read_only
        .address_space:  global
        .offset:         24
        .size:           8
        .value_kind:     global_buffer
      - .offset:         32
        .size:           8
        .value_kind:     by_value
      - .actual_access:  read_only
        .address_space:  global
        .offset:         40
        .size:           8
        .value_kind:     global_buffer
      - .actual_access:  read_only
        .address_space:  global
        .offset:         48
        .size:           8
        .value_kind:     global_buffer
      - .offset:         56
        .size:           4
        .value_kind:     by_value
      - .actual_access:  read_only
        .address_space:  global
        .offset:         64
        .size:           8
        .value_kind:     global_buffer
      - .actual_access:  read_only
        .address_space:  global
        .offset:         72
        .size:           8
        .value_kind:     global_buffer
      - .address_space:  global
        .offset:         80
        .size:           8
        .value_kind:     global_buffer
    .group_segment_fixed_size: 0
    .kernarg_segment_align: 8
    .kernarg_segment_size: 88
    .language:       OpenCL C
    .language_version:
      - 2
      - 0
    .max_flat_workgroup_size: 100
    .name:           fft_rtc_fwd_len3000_factors_10_3_10_10_wgs_100_tpt_100_halfLds_dp_ip_CI_unitstride_sbrr_C2R_dirReg
    .private_segment_fixed_size: 12
    .sgpr_count:     30
    .sgpr_spill_count: 0
    .symbol:         fft_rtc_fwd_len3000_factors_10_3_10_10_wgs_100_tpt_100_halfLds_dp_ip_CI_unitstride_sbrr_C2R_dirReg.kd
    .uniform_work_group_size: 1
    .uses_dynamic_stack: false
    .vgpr_count:     256
    .vgpr_spill_count: 2
    .wavefront_size: 32
    .workgroup_processor_mode: 1
amdhsa.target:   amdgcn-amd-amdhsa--gfx1030
amdhsa.version:
  - 1
  - 2
...

	.end_amdgpu_metadata
